;; amdgpu-corpus repo=ROCm/rocFFT kind=compiled arch=gfx1201 opt=O3
	.text
	.amdgcn_target "amdgcn-amd-amdhsa--gfx1201"
	.amdhsa_code_object_version 6
	.protected	bluestein_single_fwd_len2430_dim1_sp_op_CI_CI ; -- Begin function bluestein_single_fwd_len2430_dim1_sp_op_CI_CI
	.globl	bluestein_single_fwd_len2430_dim1_sp_op_CI_CI
	.p2align	8
	.type	bluestein_single_fwd_len2430_dim1_sp_op_CI_CI,@function
bluestein_single_fwd_len2430_dim1_sp_op_CI_CI: ; @bluestein_single_fwd_len2430_dim1_sp_op_CI_CI
; %bb.0:
	s_load_b128 s[16:19], s[0:1], 0x28
	v_mul_u32_u24_e32 v1, 0x32a, v0
	s_mov_b32 s2, exec_lo
	v_mov_b32_e32 v3, 0
	s_delay_alu instid0(VALU_DEP_2) | instskip(NEXT) | instid1(VALU_DEP_1)
	v_lshrrev_b32_e32 v1, 16, v1
	v_add_nc_u32_e32 v2, ttmp9, v1
	s_wait_kmcnt 0x0
	s_delay_alu instid0(VALU_DEP_1)
	v_cmpx_gt_u64_e64 s[16:17], v[2:3]
	s_cbranch_execz .LBB0_2
; %bb.1:
	s_clause 0x1
	s_load_b128 s[4:7], s[0:1], 0x18
	s_load_b128 s[8:11], s[0:1], 0x0
	v_mul_lo_u16 v1, 0x51, v1
	s_load_b64 s[0:1], s[0:1], 0x38
	v_mov_b32_e32 v4, v2
	s_delay_alu instid0(VALU_DEP_2) | instskip(SKIP_2) | instid1(VALU_DEP_1)
	v_sub_nc_u16 v12, v0, v1
	scratch_store_b64 off, v[4:5], off      ; 8-byte Folded Spill
	v_and_b32_e32 v131, 0xffff, v12
	v_add_co_u32 v129, null, 0x1e6, v131
	v_add_co_u32 v130, null, 0x237, v131
	s_wait_kmcnt 0x0
	s_load_b128 s[12:15], s[4:5], 0x0
	v_lshlrev_b32_e32 v128, 3, v131
	s_clause 0x2
	global_load_b64 v[47:48], v128, s[8:9]
	global_load_b64 v[31:32], v128, s[8:9] offset:1944
	global_load_b64 v[35:36], v128, s[8:9] offset:3888
	v_add_nc_u32_e32 v244, 0x3400, v128
	v_add_nc_u32_e32 v254, 0x3800, v128
	s_wait_kmcnt 0x0
	v_mad_co_u64_u32 v[0:1], null, s14, v2, 0
	v_mad_co_u64_u32 v[2:3], null, s12, v131, 0
	s_mul_u64 s[2:3], s[12:13], 0x798
	s_mul_i32 s4, s13, 0xffffbe30
	s_delay_alu instid0(SALU_CYCLE_1) | instskip(NEXT) | instid1(VALU_DEP_1)
	s_sub_co_i32 s4, s4, s12
	v_mad_co_u64_u32 v[4:5], null, s15, v4, v[1:2]
	s_delay_alu instid0(VALU_DEP_1) | instskip(SKIP_1) | instid1(VALU_DEP_1)
	v_mad_co_u64_u32 v[5:6], null, s13, v131, v[3:4]
	v_mov_b32_e32 v1, v4
	v_lshlrev_b64_e32 v[0:1], 3, v[0:1]
	s_delay_alu instid0(VALU_DEP_3) | instskip(NEXT) | instid1(VALU_DEP_2)
	v_mov_b32_e32 v3, v5
	v_add_co_u32 v0, vcc_lo, s18, v0
	s_delay_alu instid0(VALU_DEP_2) | instskip(NEXT) | instid1(VALU_DEP_4)
	v_lshlrev_b64_e32 v[2:3], 3, v[2:3]
	v_add_co_ci_u32_e32 v1, vcc_lo, s19, v1, vcc_lo
	s_delay_alu instid0(VALU_DEP_2) | instskip(SKIP_1) | instid1(VALU_DEP_2)
	v_add_co_u32 v0, vcc_lo, v0, v2
	s_wait_alu 0xfffd
	v_add_co_ci_u32_e32 v1, vcc_lo, v1, v3, vcc_lo
	s_delay_alu instid0(VALU_DEP_2) | instskip(SKIP_1) | instid1(VALU_DEP_2)
	v_add_co_u32 v4, vcc_lo, v0, s2
	s_wait_alu 0xfffd
	v_add_co_ci_u32_e32 v5, vcc_lo, s3, v1, vcc_lo
	global_load_b64 v[2:3], v[0:1], off
	v_add_co_u32 v6, vcc_lo, v4, s2
	s_wait_alu 0xfffd
	v_add_co_ci_u32_e32 v7, vcc_lo, s3, v5, vcc_lo
	global_load_b64 v[0:1], v[4:5], off
	;; [unrolled: 4-line block ×3, first 2 shown]
	v_add_co_u32 v10, vcc_lo, v8, s2
	s_wait_alu 0xfffd
	v_add_co_ci_u32_e32 v11, vcc_lo, s3, v9, vcc_lo
	s_clause 0x1
	global_load_b64 v[29:30], v128, s[8:9] offset:5832
	global_load_b64 v[37:38], v128, s[8:9] offset:7776
	global_load_b64 v[6:7], v[8:9], off
	global_load_b64 v[27:28], v128, s[8:9] offset:9720
	global_load_b64 v[8:9], v[10:11], off
	v_add_co_u32 v10, vcc_lo, v10, s2
	s_wait_alu 0xfffd
	v_add_co_ci_u32_e32 v11, vcc_lo, s3, v11, vcc_lo
	global_load_b64 v[51:52], v128, s[8:9] offset:11664
	v_add_co_u32 v13, vcc_lo, v10, s2
	s_wait_alu 0xfffd
	v_add_co_ci_u32_e32 v14, vcc_lo, s3, v11, vcc_lo
	global_load_b64 v[10:11], v[10:11], off
	v_add_co_u32 v15, vcc_lo, v13, s2
	s_wait_alu 0xfffd
	v_add_co_ci_u32_e32 v16, vcc_lo, s3, v14, vcc_lo
	global_load_b64 v[13:14], v[13:14], off
	global_load_b64 v[33:34], v128, s[8:9] offset:13608
	global_load_b64 v[19:20], v[15:16], off
	v_add_co_u32 v15, vcc_lo, v15, s2
	s_wait_alu 0xfffd
	v_add_co_ci_u32_e32 v16, vcc_lo, s3, v16, vcc_lo
	global_load_b64 v[53:54], v128, s[8:9] offset:15552
	global_load_b64 v[21:22], v[15:16], off
	s_clause 0x9
	global_load_b64 v[57:58], v128, s[8:9] offset:648
	global_load_b64 v[61:62], v128, s[8:9] offset:4536
	;; [unrolled: 1-line block ×10, first 2 shown]
	v_add_co_u32 v15, vcc_lo, v15, s2
	s_wait_alu 0xfffd
	v_add_co_ci_u32_e32 v16, vcc_lo, s3, v16, vcc_lo
	s_wait_loadcnt 0x1b
	scratch_store_b64 off, v[47:48], off offset:240 ; 8-byte Folded Spill
	s_wait_loadcnt 0x1a
	scratch_store_b64 off, v[31:32], off offset:152 ; 8-byte Folded Spill
	;; [unrolled: 2-line block ×3, first 2 shown]
	s_wait_loadcnt 0x18
	v_mul_f32_e32 v23, v3, v48
	v_mul_f32_e32 v17, v2, v48
	s_delay_alu instid0(VALU_DEP_2) | instskip(NEXT) | instid1(VALU_DEP_2)
	v_fmac_f32_e32 v23, v2, v47
	v_fma_f32 v24, v3, v47, -v17
	s_wait_loadcnt 0x17
	v_mul_f32_e32 v3, v0, v32
	global_load_b64 v[47:48], v128, s[8:9] offset:11016
	s_wait_loadcnt 0x17
	v_mul_f32_e32 v2, v5, v36
	v_mul_f32_e32 v17, v4, v36
	s_wait_loadcnt 0x16
	scratch_store_b64 off, v[29:30], off offset:56 ; 8-byte Folded Spill
	s_wait_loadcnt 0x15
	scratch_store_b64 off, v[37:38], off offset:192 ; 8-byte Folded Spill
	v_fmac_f32_e32 v2, v4, v35
	s_wait_loadcnt 0x12
	v_mul_f32_e32 v4, v9, v38
	s_delay_alu instid0(VALU_DEP_1) | instskip(NEXT) | instid1(VALU_DEP_1)
	v_dual_mul_f32 v25, v1, v32 :: v_dual_fmac_f32 v4, v8, v37
	v_dual_fmac_f32 v25, v0, v31 :: v_dual_mul_f32 v0, v7, v30
	s_delay_alu instid0(VALU_DEP_1)
	v_fmac_f32_e32 v0, v6, v29
	v_fma_f32 v26, v1, v31, -v3
	v_fma_f32 v3, v5, v35, -v17
	v_mul_f32_e32 v1, v6, v30
	v_mul_f32_e32 v5, v8, v38
	ds_store_b64 v128, v[25:26] offset:1944
	v_fma_f32 v1, v7, v29, -v1
	s_clause 0x1
	global_load_b64 v[35:36], v128, s[8:9] offset:14256
	global_load_b64 v[29:30], v128, s[8:9] offset:14904
	ds_store_b64 v128, v[2:3] offset:3888
	s_wait_loadcnt 0x12
	v_mul_f32_e32 v2, v11, v28
	v_mul_f32_e32 v3, v10, v28
	v_fma_f32 v5, v9, v37, -v5
	scratch_store_b64 off, v[27:28], off offset:24 ; 8-byte Folded Spill
	ds_store_b64 v128, v[0:1] offset:5832
	ds_store_b64 v128, v[4:5] offset:7776
	s_wait_loadcnt 0xf
	v_dual_mul_f32 v4, v20, v34 :: v_dual_mul_f32 v1, v13, v52
	v_fmac_f32_e32 v2, v10, v27
	v_fma_f32 v3, v11, v27, -v3
	v_mul_f32_e32 v0, v14, v52
	s_delay_alu instid0(VALU_DEP_4)
	v_fmac_f32_e32 v4, v19, v33
	v_fma_f32 v1, v14, v51, -v1
	global_load_b64 v[9:10], v128, s[8:9] offset:17496
	scratch_store_b64 off, v[51:52], off offset:168 ; 8-byte Folded Spill
	s_wait_loadcnt 0x7
	scratch_store_b64 off, v[59:60], off offset:216 ; 8-byte Folded Spill
	v_fmac_f32_e32 v0, v13, v51
	ds_store_b64 v128, v[2:3] offset:9720
	v_mad_co_u64_u32 v[2:3], null, 0xffffbe30, s12, v[15:16]
	v_mul_f32_e32 v6, v21, v54
	s_clause 0x2
	global_load_b64 v[37:38], v128, s[8:9] offset:12960
	global_load_b64 v[51:52], v128, s[8:9] offset:16200
	;; [unrolled: 1-line block ×3, first 2 shown]
	s_clause 0x2
	scratch_store_b64 off, v[33:34], off offset:16
	scratch_store_b64 off, v[39:40], off offset:96
	;; [unrolled: 1-line block ×3, first 2 shown]
	v_add_nc_u32_e32 v3, s4, v3
	v_fma_f32 v7, v22, v53, -v6
	v_mul_f32_e32 v6, v22, v54
	v_mul_f32_e32 v5, v19, v34
	s_clause 0x2
	scratch_store_b64 off, v[53:54], off offset:160
	scratch_store_b64 off, v[57:58], off offset:224
	;; [unrolled: 1-line block ×3, first 2 shown]
	v_fmac_f32_e32 v6, v21, v53
	v_fma_f32 v5, v20, v33, -v5
	ds_store_b64 v128, v[0:1] offset:11664
	global_load_b64 v[0:1], v[15:16], off
	s_clause 0x1
	scratch_store_b64 off, v[49:50], off offset:136
	scratch_store_b64 off, v[45:46], off offset:144
	ds_store_b64 v128, v[4:5] offset:13608
	ds_store_b64 v128, v[6:7] offset:15552
	s_wait_loadcnt 0xa
	scratch_store_b64 off, v[43:44], off offset:112 ; 8-byte Folded Spill
	s_wait_loadcnt 0x4
	scratch_store_b64 off, v[9:10], off offset:8 ; 8-byte Folded Spill
	s_wait_loadcnt 0x0
	v_mul_f32_e32 v4, v1, v10
	v_mul_f32_e32 v8, v0, v10
	s_delay_alu instid0(VALU_DEP_2) | instskip(SKIP_1) | instid1(VALU_DEP_3)
	v_fmac_f32_e32 v4, v0, v9
	v_add_co_u32 v0, vcc_lo, v2, s2
	v_fma_f32 v5, v1, v9, -v8
	s_wait_alu 0xfffd
	v_add_co_ci_u32_e32 v1, vcc_lo, s3, v3, vcc_lo
	global_load_b64 v[2:3], v[2:3], off
	global_load_b64 v[8:9], v128, s[8:9] offset:2592
	s_wait_loadcnt 0x1
	v_mul_f32_e32 v7, v2, v58
	v_mul_f32_e32 v6, v3, v58
	ds_store_b64 v128, v[4:5] offset:17496
	s_wait_loadcnt 0x0
	scratch_store_b64 off, v[8:9], off offset:128 ; 8-byte Folded Spill
	v_fma_f32 v7, v3, v57, -v7
	v_fmac_f32_e32 v6, v2, v57
	v_add_co_u32 v2, vcc_lo, v0, s2
	s_wait_alu 0xfffd
	v_add_co_ci_u32_e32 v3, vcc_lo, s3, v1, vcc_lo
	global_load_b64 v[0:1], v[0:1], off
	ds_store_2addr_b64 v128, v[23:24], v[6:7] offset1:81
	v_add_co_u32 v6, vcc_lo, v2, s2
	s_wait_alu 0xfffd
	v_add_co_ci_u32_e32 v7, vcc_lo, s3, v3, vcc_lo
	global_load_b64 v[2:3], v[2:3], off
	s_wait_loadcnt 0x1
	v_mul_f32_e32 v4, v1, v9
	v_mul_f32_e32 v5, v0, v9
	s_delay_alu instid0(VALU_DEP_2) | instskip(SKIP_1) | instid1(VALU_DEP_3)
	v_fmac_f32_e32 v4, v0, v8
	v_add_co_u32 v0, vcc_lo, v6, s2
	v_fma_f32 v5, v1, v8, -v5
	s_wait_alu 0xfffd
	v_add_co_ci_u32_e32 v1, vcc_lo, s3, v7, vcc_lo
	s_delay_alu instid0(VALU_DEP_3) | instskip(SKIP_1) | instid1(VALU_DEP_2)
	v_add_co_u32 v8, vcc_lo, v0, s2
	s_wait_alu 0xfffd
	v_add_co_ci_u32_e32 v9, vcc_lo, s3, v1, vcc_lo
	s_delay_alu instid0(VALU_DEP_2)
	v_add_co_u32 v10, vcc_lo, v8, s2
	global_load_b64 v[0:1], v[0:1], off
	s_wait_alu 0xfffd
	v_add_co_ci_u32_e32 v11, vcc_lo, s3, v9, vcc_lo
	v_add_co_u32 v13, vcc_lo, v10, s2
	s_wait_alu 0xfffd
	s_delay_alu instid0(VALU_DEP_2) | instskip(NEXT) | instid1(VALU_DEP_2)
	v_add_co_ci_u32_e32 v14, vcc_lo, s3, v11, vcc_lo
	v_add_co_u32 v15, vcc_lo, v13, s2
	s_wait_alu 0xfffd
	s_delay_alu instid0(VALU_DEP_2) | instskip(NEXT) | instid1(VALU_DEP_2)
	v_add_co_ci_u32_e32 v16, vcc_lo, s3, v14, vcc_lo
	v_add_co_u32 v19, vcc_lo, v15, s2
	s_wait_alu 0xfffd
	s_delay_alu instid0(VALU_DEP_2) | instskip(NEXT) | instid1(VALU_DEP_1)
	v_add_co_ci_u32_e32 v20, vcc_lo, s3, v16, vcc_lo
	v_mad_co_u64_u32 v[21:22], null, 0xffffbe30, s12, v[19:20]
	s_delay_alu instid0(VALU_DEP_1) | instskip(NEXT) | instid1(VALU_DEP_2)
	v_add_nc_u32_e32 v22, s4, v22
	v_add_co_u32 v23, vcc_lo, v21, s2
	s_wait_alu 0xfffd
	s_delay_alu instid0(VALU_DEP_2) | instskip(SKIP_3) | instid1(VALU_DEP_1)
	v_add_co_ci_u32_e32 v24, vcc_lo, s3, v22, vcc_lo
	global_load_b64 v[25:26], v[23:24], off
	s_wait_loadcnt 0x0
	v_mul_f32_e32 v17, v25, v50
	v_fma_f32 v27, v26, v49, -v17
	v_dual_mul_f32 v26, v26, v50 :: v_dual_add_nc_u32 v17, 0x800, v128
	s_delay_alu instid0(VALU_DEP_1) | instskip(NEXT) | instid1(VALU_DEP_2)
	v_fmac_f32_e32 v26, v25, v49
	v_mov_b32_e32 v207, v17
	ds_store_2addr_b64 v17, v[4:5], v[26:27] offset0:68 offset1:149
	v_add_co_u32 v4, vcc_lo, v23, s2
	s_wait_alu 0xfffd
	v_add_co_ci_u32_e32 v5, vcc_lo, s3, v24, vcc_lo
	v_mul_f32_e32 v17, v2, v62
	v_mul_f32_e32 v23, v3, v62
	s_delay_alu instid0(VALU_DEP_2) | instskip(NEXT) | instid1(VALU_DEP_2)
	v_fma_f32 v24, v3, v61, -v17
	v_fmac_f32_e32 v23, v2, v61
	global_load_b64 v[2:3], v[4:5], off
	s_wait_loadcnt 0x0
	v_mul_f32_e32 v17, v2, v46
	v_mul_f32_e32 v25, v3, v46
	s_delay_alu instid0(VALU_DEP_2) | instskip(NEXT) | instid1(VALU_DEP_2)
	v_fma_f32 v26, v3, v45, -v17
	v_dual_fmac_f32 v25, v2, v45 :: v_dual_add_nc_u32 v2, 0x1000, v128
	ds_store_2addr_b64 v2, v[23:24], v[25:26] offset0:55 offset1:136
	v_mov_b32_e32 v216, v2
	v_add_co_u32 v2, vcc_lo, v4, s2
	s_wait_alu 0xfffd
	v_add_co_ci_u32_e32 v3, vcc_lo, s3, v5, vcc_lo
	global_load_b64 v[4:5], v[6:7], off
	global_load_b64 v[23:24], v[2:3], off
	v_add_co_u32 v2, vcc_lo, v2, s2
	s_wait_alu 0xfffd
	v_add_co_ci_u32_e32 v3, vcc_lo, s3, v3, vcc_lo
	s_wait_loadcnt 0x1
	v_mul_f32_e32 v6, v4, v40
	s_delay_alu instid0(VALU_DEP_1) | instskip(SKIP_2) | instid1(VALU_DEP_1)
	v_fma_f32 v6, v5, v39, -v6
	v_mul_f32_e32 v5, v5, v40
	s_wait_loadcnt 0x0
	v_dual_fmac_f32 v5, v4, v39 :: v_dual_mul_f32 v4, v23, v42
	s_delay_alu instid0(VALU_DEP_1) | instskip(SKIP_2) | instid1(VALU_DEP_1)
	v_fma_f32 v25, v24, v41, -v4
	v_mul_f32_e32 v24, v24, v42
	v_add_nc_u32_e32 v4, 0x1800, v128
	v_dual_fmac_f32 v24, v23, v41 :: v_dual_mov_b32 v245, v4
	ds_store_2addr_b64 v4, v[5:6], v[24:25] offset0:42 offset1:123
	v_mul_f32_e32 v4, v0, v60
	s_delay_alu instid0(VALU_DEP_1) | instskip(SKIP_1) | instid1(VALU_DEP_1)
	v_fma_f32 v5, v1, v59, -v4
	v_mul_f32_e32 v4, v1, v60
	v_fmac_f32_e32 v4, v0, v59
	global_load_b64 v[0:1], v[2:3], off
	s_wait_loadcnt 0x0
	v_mul_f32_e32 v6, v0, v44
	s_delay_alu instid0(VALU_DEP_1) | instskip(SKIP_1) | instid1(VALU_DEP_1)
	v_fma_f32 v7, v1, v43, -v6
	v_mul_f32_e32 v6, v1, v44
	v_fmac_f32_e32 v6, v0, v43
	v_add_nc_u32_e32 v0, 0x2000, v128
	ds_store_2addr_b64 v0, v[4:5], v[6:7] offset0:29 offset1:110
	v_mov_b32_e32 v246, v0
	v_add_co_u32 v0, vcc_lo, v2, s2
	s_wait_alu 0xfffd
	v_add_co_ci_u32_e32 v1, vcc_lo, s3, v3, vcc_lo
	global_load_b64 v[2:3], v[8:9], off
	global_load_b64 v[5:6], v128, s[8:9] offset:10368
	s_clause 0x5
	scratch_store_b64 off, v[37:38], off offset:64
	scratch_store_b64 off, v[35:36], off offset:72
	;; [unrolled: 1-line block ×6, first 2 shown]
	s_wait_loadcnt 0x0
	v_mul_f32_e32 v4, v2, v6
	s_clause 0x1
	scratch_store_b64 off, v[5:6], off offset:120
	scratch_store_b64 off, v[63:64], off offset:208
	v_fma_f32 v4, v3, v5, -v4
	v_mul_f32_e32 v3, v3, v6
	s_delay_alu instid0(VALU_DEP_1)
	v_fmac_f32_e32 v3, v2, v5
	global_load_b64 v[5:6], v[0:1], off
	v_add_co_u32 v0, vcc_lo, v0, s2
	s_wait_alu 0xfffd
	v_add_co_ci_u32_e32 v1, vcc_lo, s3, v1, vcc_lo
	s_wait_loadcnt 0x0
	v_mul_f32_e32 v2, v5, v48
	s_delay_alu instid0(VALU_DEP_1) | instskip(SKIP_2) | instid1(VALU_DEP_1)
	v_fma_f32 v7, v6, v47, -v2
	v_mul_f32_e32 v6, v6, v48
	v_add_nc_u32_e32 v2, 0x2800, v128
	v_dual_fmac_f32 v6, v5, v47 :: v_dual_mov_b32 v247, v2
	ds_store_2addr_b64 v2, v[3:4], v[6:7] offset0:16 offset1:97
	global_load_b64 v[2:3], v[10:11], off
	global_load_b64 v[5:6], v[0:1], off
	v_add_co_u32 v0, vcc_lo, v0, s2
	s_wait_alu 0xfffd
	v_add_co_ci_u32_e32 v1, vcc_lo, s3, v1, vcc_lo
	s_wait_loadcnt 0x1
	v_mul_f32_e32 v4, v2, v64
	s_delay_alu instid0(VALU_DEP_1) | instskip(SKIP_2) | instid1(VALU_DEP_1)
	v_fma_f32 v4, v3, v63, -v4
	v_mul_f32_e32 v3, v3, v64
	s_wait_loadcnt 0x0
	v_dual_fmac_f32 v3, v2, v63 :: v_dual_mul_f32 v2, v5, v38
	s_delay_alu instid0(VALU_DEP_1) | instskip(SKIP_2) | instid1(VALU_DEP_2)
	v_fma_f32 v7, v6, v37, -v2
	v_mul_f32_e32 v6, v6, v38
	v_add_nc_u32_e32 v2, 0x3000, v128
	v_fmac_f32_e32 v6, v5, v37
	s_delay_alu instid0(VALU_DEP_2)
	v_mov_b32_e32 v136, v2
	ds_store_2addr_b64 v2, v[3:4], v[6:7] offset0:3 offset1:84
	global_load_b64 v[2:3], v[13:14], off
	global_load_b64 v[5:6], v[0:1], off
	v_add_co_u32 v0, vcc_lo, v0, s2
	s_wait_alu 0xfffd
	v_add_co_ci_u32_e32 v1, vcc_lo, s3, v1, vcc_lo
	v_add_nc_u32_e32 v14, 0x1c00, v128
	s_delay_alu instid0(VALU_DEP_1) | instskip(SKIP_2) | instid1(VALU_DEP_1)
	v_mov_b32_e32 v253, v14
	s_wait_loadcnt 0x1
	v_mul_f32_e32 v4, v2, v36
	v_fma_f32 v4, v3, v35, -v4
	v_mul_f32_e32 v3, v3, v36
	s_wait_loadcnt 0x0
	s_delay_alu instid0(VALU_DEP_1) | instskip(NEXT) | instid1(VALU_DEP_1)
	v_dual_fmac_f32 v3, v2, v35 :: v_dual_mul_f32 v2, v5, v30
	v_fma_f32 v7, v6, v29, -v2
	v_mul_f32_e32 v6, v6, v30
	s_delay_alu instid0(VALU_DEP_1)
	v_fmac_f32_e32 v6, v5, v29
	ds_store_2addr_b64 v244, v[3:4], v[6:7] offset0:118 offset1:199
	global_load_b64 v[2:3], v[15:16], off
	global_load_b64 v[5:6], v[0:1], off
	v_add_co_u32 v0, vcc_lo, v0, s2
	s_wait_alu 0xfffd
	v_add_co_ci_u32_e32 v1, vcc_lo, s3, v1, vcc_lo
	v_cmp_gt_u16_e32 vcc_lo, 9, v12
	s_wait_loadcnt 0x1
	v_mul_f32_e32 v4, v2, v52
	s_delay_alu instid0(VALU_DEP_1) | instskip(SKIP_2) | instid1(VALU_DEP_1)
	v_fma_f32 v4, v3, v51, -v4
	v_mul_f32_e32 v3, v3, v52
	s_wait_loadcnt 0x0
	v_dual_fmac_f32 v3, v2, v51 :: v_dual_mul_f32 v2, v5, v32
	s_delay_alu instid0(VALU_DEP_1) | instskip(SKIP_2) | instid1(VALU_DEP_2)
	v_fma_f32 v7, v6, v31, -v2
	v_mul_f32_e32 v6, v6, v32
	v_add_nc_u32_e32 v2, 0x3c00, v128
	v_fmac_f32_e32 v6, v5, v31
	ds_store_2addr_b64 v2, v[3:4], v[6:7] offset0:105 offset1:186
	global_load_b64 v[2:3], v[19:20], off
	s_clause 0x1
	global_load_b64 v[5:6], v128, s[8:9] offset:18144
	global_load_b64 v[7:8], v128, s[8:9] offset:18792
	global_load_b64 v[0:1], v[0:1], off
	s_load_b128 s[4:7], s[6:7], 0x0
	scratch_store_b64 off, v[55:56], off offset:176 ; 8-byte Folded Spill
	s_wait_loadcnt 0x2
	v_mul_f32_e32 v4, v2, v6
	scratch_store_b64 off, v[5:6], off offset:40 ; 8-byte Folded Spill
	s_wait_loadcnt 0x1
	scratch_store_b64 off, v[7:8], off offset:48 ; 8-byte Folded Spill
	v_fma_f32 v4, v3, v5, -v4
	v_mul_f32_e32 v3, v3, v6
	s_wait_loadcnt 0x0
	s_delay_alu instid0(VALU_DEP_1) | instskip(NEXT) | instid1(VALU_DEP_1)
	v_dual_fmac_f32 v3, v2, v5 :: v_dual_mul_f32 v2, v0, v8
	v_fma_f32 v2, v1, v7, -v2
	v_mul_f32_e32 v1, v1, v8
	s_delay_alu instid0(VALU_DEP_1) | instskip(NEXT) | instid1(VALU_DEP_1)
	v_dual_fmac_f32 v1, v0, v7 :: v_dual_add_nc_u32 v8, 0xc00, v128
	v_dual_mov_b32 v233, v8 :: v_dual_add_nc_u32 v0, 0x4400, v128
	ds_store_2addr_b64 v0, v[3:4], v[1:2] offset0:92 offset1:173
	v_mov_b32_e32 v232, v0
	global_load_b64 v[0:1], v[21:22], off
	s_wait_loadcnt 0x0
	v_mul_f32_e32 v2, v0, v56
	s_delay_alu instid0(VALU_DEP_1) | instskip(SKIP_1) | instid1(VALU_DEP_1)
	v_fma_f32 v2, v1, v55, -v2
	v_mul_f32_e32 v1, v1, v56
	v_fmac_f32_e32 v1, v0, v55
	ds_store_b64 v128, v[1:2] offset:1296
	global_wb scope:SCOPE_SE
	s_wait_storecnt_dscnt 0x0
	s_wait_kmcnt 0x0
	s_barrier_signal -1
	s_barrier_wait -1
	global_inv scope:SCOPE_SE
	ds_load_2addr_b64 v[0:3], v128 offset1:81
	ds_load_2addr_b64 v[4:7], v8 offset0:102 offset1:183
	ds_load_2addr_b64 v[8:11], v14 offset0:76 offset1:157
	s_wait_dscnt 0x1
	v_add_f32_e32 v13, v0, v4
	s_wait_dscnt 0x0
	v_sub_f32_e32 v94, v4, v8
	v_dual_sub_f32 v82, v8, v4 :: v_dual_sub_f32 v95, v5, v9
	v_sub_f32_e32 v84, v9, v5
	v_add_f32_e32 v14, v13, v8
	v_dual_add_f32 v13, v1, v5 :: v_dual_sub_f32 v66, v6, v10
	v_sub_f32_e32 v17, v10, v6
	v_sub_f32_e32 v67, v7, v11
	s_delay_alu instid0(VALU_DEP_3) | instskip(SKIP_1) | instid1(VALU_DEP_1)
	v_dual_sub_f32 v72, v11, v7 :: v_dual_add_f32 v15, v13, v9
	v_add_f32_e32 v13, v2, v6
	v_dual_add_f32 v26, v13, v10 :: v_dual_add_f32 v13, v3, v7
	s_delay_alu instid0(VALU_DEP_1)
	v_add_f32_e32 v27, v13, v11
	v_add_nc_u32_e32 v13, 0x2c00, v128
	ds_load_2addr_b64 v[22:25], v13 offset0:50 offset1:131
	v_mov_b32_e32 v255, v13
	s_wait_dscnt 0x0
	v_dual_add_f32 v79, v8, v22 :: v_dual_sub_f32 v68, v9, v23
	v_dual_add_f32 v80, v9, v23 :: v_dual_sub_f32 v69, v8, v22
	;; [unrolled: 1-line block ×4, first 2 shown]
	ds_load_2addr_b64 v[8:11], v254 offset0:152 offset1:233
	s_wait_dscnt 0x0
	v_sub_f32_e32 v20, v7, v11
	v_add_f32_e32 v75, v7, v11
	v_add_f32_e32 v7, v27, v25
	v_sub_f32_e32 v71, v5, v9
	v_add_f32_e32 v87, v4, v8
	v_dual_sub_f32 v73, v4, v8 :: v_dual_add_f32 v86, v5, v9
	v_add_f32_e32 v74, v6, v10
	v_sub_f32_e32 v21, v6, v10
	v_dual_add_f32 v5, v15, v23 :: v_dual_add_f32 v6, v26, v24
	v_sub_f32_e32 v97, v9, v23
	v_sub_f32_e32 v89, v23, v9
	v_dual_add_f32 v23, v7, v11 :: v_dual_add_f32 v4, v14, v22
	v_sub_f32_e32 v96, v8, v22
	v_sub_f32_e32 v88, v22, v8
	v_dual_sub_f32 v14, v10, v24 :: v_dual_sub_f32 v77, v24, v10
	v_sub_f32_e32 v78, v11, v25
	v_dual_sub_f32 v76, v25, v11 :: v_dual_add_f32 v83, v4, v8
	v_dual_add_f32 v85, v5, v9 :: v_dual_add_f32 v22, v6, v10
	v_add_nc_u32_e32 v15, 0x4000, v128
	ds_load_2addr_b64 v[4:7], v128 offset0:162 offset1:243
	ds_load_2addr_b64 v[8:11], v216 offset0:136 offset1:217
	;; [unrolled: 1-line block ×3, first 2 shown]
	v_add_f32_e32 v95, v95, v97
	ds_load_2addr_b64 v[43:46], v15 offset0:58 offset1:139
	s_wait_dscnt 0x2
	v_add_f32_e32 v29, v6, v10
	v_add_f32_e32 v37, v7, v11
	s_wait_dscnt 0x1
	v_sub_f32_e32 v103, v11, v33
	s_wait_dscnt 0x0
	v_dual_sub_f32 v93, v33, v11 :: v_dual_add_f32 v90, v11, v46
	v_add_f32_e32 v38, v29, v32
	v_mov_b32_e32 v132, v15
	v_sub_f32_e32 v15, v11, v46
	v_dual_add_f32 v11, v5, v9 :: v_dual_sub_f32 v102, v10, v32
	v_add_f32_e32 v91, v10, v45
	v_dual_sub_f32 v81, v10, v45 :: v_dual_sub_f32 v24, v9, v44
	s_delay_alu instid0(VALU_DEP_3)
	v_dual_add_f32 v41, v11, v31 :: v_dual_sub_f32 v92, v32, v10
	v_add_f32_e32 v10, v4, v8
	v_sub_f32_e32 v27, v8, v30
	v_add_f32_e32 v26, v8, v43
	v_dual_sub_f32 v28, v30, v8 :: v_dual_sub_f32 v25, v8, v43
	v_add_f32_e32 v34, v9, v44
	v_dual_sub_f32 v36, v9, v31 :: v_dual_sub_f32 v35, v31, v9
	v_add_f32_e32 v40, v10, v30
	ds_load_2addr_b64 v[8:11], v136 offset0:84 offset1:165
	v_add_f32_e32 v39, v37, v33
	v_add_f32_e32 v84, v84, v89
	;; [unrolled: 1-line block ×3, first 2 shown]
	v_fma_f32 v70, -0.5, v70, v3
	v_fmac_f32_e32 v3, -0.5, v75
	s_delay_alu instid0(VALU_DEP_1) | instskip(SKIP_1) | instid1(VALU_DEP_2)
	v_fmamk_f32 v75, v19, 0x3f737871, v3
	v_fmac_f32_e32 v3, 0xbf737871, v19
	v_fmac_f32_e32 v75, 0xbf167918, v21
	s_wait_dscnt 0x0
	s_delay_alu instid0(VALU_DEP_2)
	v_dual_fmac_f32 v3, 0x3f167918, v21 :: v_dual_add_f32 v104, v32, v10
	v_sub_f32_e32 v107, v32, v10
	v_sub_f32_e32 v29, v31, v9
	v_add_f32_e32 v37, v31, v9
	v_dual_add_f32 v31, v38, v10 :: v_dual_add_f32 v32, v39, v11
	v_add_f32_e32 v47, v41, v9
	v_sub_f32_e32 v105, v33, v11
	v_dual_add_f32 v106, v33, v11 :: v_dual_add_f32 v33, v30, v8
	v_sub_f32_e32 v30, v30, v8
	v_add_f32_e32 v40, v40, v8
	v_dual_sub_f32 v108, v45, v10 :: v_dual_sub_f32 v109, v10, v45
	v_dual_sub_f32 v110, v46, v11 :: v_dual_sub_f32 v111, v11, v46
	v_sub_f32_e32 v41, v43, v8
	v_sub_f32_e32 v39, v8, v43
	;; [unrolled: 1-line block ×4, first 2 shown]
	v_dual_add_f32 v112, v31, v45 :: v_dual_add_f32 v113, v32, v46
	v_add_f32_e32 v32, v47, v44
	ds_load_2addr_b64 v[8:11], v207 offset0:68 offset1:149
	ds_load_2addr_b64 v[45:48], v245 offset0:42 offset1:123
	;; [unrolled: 1-line block ×5, first 2 shown]
	v_dual_add_f32 v89, v93, v111 :: v_dual_add_f32 v14, v66, v14
	v_add_f32_e32 v66, v67, v78
	global_wb scope:SCOPE_SE
	s_wait_dscnt 0x0
	s_barrier_signal -1
	s_barrier_wait -1
	global_inv scope:SCOPE_SE
	v_fma_f32 v26, -0.5, v26, v4
	v_fma_f32 v33, -0.5, v33, v4
	v_add_co_u32 v4, null, 0xa2, v131
	v_add_f32_e32 v53, v9, v46
	v_add_f32_e32 v61, v11, v48
	;; [unrolled: 1-line block ×4, first 2 shown]
	v_dual_sub_f32 v118, v46, v57 :: v_dual_add_f32 v123, v57, v63
	v_add_f32_e32 v53, v53, v57
	v_add_f32_e32 v121, v61, v59
	v_dual_add_f32 v60, v10, v47 :: v_dual_sub_f32 v119, v57, v46
	v_dual_add_f32 v51, v51, v56 :: v_dual_sub_f32 v44, v46, v99
	s_delay_alu instid0(VALU_DEP_4) | instskip(NEXT) | instid1(VALU_DEP_3)
	v_dual_sub_f32 v46, v47, v58 :: v_dual_add_f32 v53, v53, v63
	v_dual_add_f32 v121, v121, v65 :: v_dual_add_f32 v120, v60, v58
	v_dual_sub_f32 v114, v45, v56 :: v_dual_sub_f32 v125, v62, v98
	v_dual_add_f32 v115, v45, v98 :: v_dual_sub_f32 v116, v56, v45
	v_sub_f32_e32 v61, v57, v63
	v_sub_f32_e32 v45, v45, v98
	v_add_f32_e32 v31, v40, v43
	v_sub_f32_e32 v40, v48, v101
	v_dual_add_f32 v54, v48, v101 :: v_dual_sub_f32 v127, v99, v63
	v_dual_sub_f32 v52, v48, v59 :: v_dual_sub_f32 v55, v59, v48
	v_add_f32_e32 v122, v56, v62
	v_sub_f32_e32 v60, v56, v62
	v_sub_f32_e32 v48, v59, v65
	v_add_f32_e32 v57, v59, v65
	v_add_f32_e32 v51, v51, v62
	v_sub_f32_e32 v124, v98, v62
	v_sub_f32_e32 v62, v65, v101
	;; [unrolled: 1-line block ×3, first 2 shown]
	v_dual_add_f32 v65, v53, v99 :: v_dual_add_f32 v120, v120, v64
	v_dual_add_f32 v49, v47, v100 :: v_dual_sub_f32 v50, v58, v47
	v_sub_f32_e32 v43, v47, v100
	v_dual_add_f32 v56, v58, v64 :: v_dual_add_f32 v97, v103, v110
	v_dual_sub_f32 v47, v58, v64 :: v_dual_sub_f32 v126, v63, v99
	v_sub_f32_e32 v58, v100, v64
	v_dual_sub_f32 v63, v64, v100 :: v_dual_add_f32 v64, v51, v98
	v_add_f32_e32 v51, v120, v100
	v_fma_f32 v98, -0.5, v87, v0
	v_fma_f32 v100, -0.5, v86, v1
	;; [unrolled: 1-line block ×3, first 2 shown]
	v_add_f32_e32 v53, v121, v101
	v_fma_f32 v0, -0.5, v79, v0
	v_fmamk_f32 v99, v68, 0xbf737871, v98
	v_dual_fmamk_f32 v101, v69, 0x3f737871, v100 :: v_dual_add_f32 v94, v94, v96
	v_dual_add_f32 v96, v102, v108 :: v_dual_fmamk_f32 v87, v107, 0x3f737871, v86
	v_fmac_f32_e32 v98, 0x3f737871, v68
	s_delay_alu instid0(VALU_DEP_4) | instskip(SKIP_2) | instid1(VALU_DEP_4)
	v_fmac_f32_e32 v99, 0x3f167918, v71
	v_mul_lo_u16 v79, v12, 10
	v_fma_f32 v1, -0.5, v80, v1
	v_dual_fmac_f32 v87, 0xbf167918, v81 :: v_dual_fmac_f32 v98, 0xbf167918, v71
	s_delay_alu instid0(VALU_DEP_4) | instskip(SKIP_2) | instid1(VALU_DEP_4)
	v_fmac_f32_e32 v99, 0x3e9e377a, v82
	v_fma_f32 v7, -0.5, v106, v7
	v_and_b32_e32 v79, 0xffff, v79
	v_dual_fmac_f32 v87, 0x3e9e377a, v89 :: v_dual_fmac_f32 v98, 0x3e9e377a, v82
	v_fmac_f32_e32 v86, 0xbf737871, v107
	v_fmamk_f32 v110, v73, 0xbf737871, v1
	s_delay_alu instid0(VALU_DEP_4) | instskip(SKIP_1) | instid1(VALU_DEP_4)
	v_dual_fmac_f32 v101, 0xbf167918, v73 :: v_dual_lshlrev_b32 v18, 3, v79
	v_fma_f32 v82, -0.5, v91, v6
	v_fmac_f32_e32 v86, 0x3f167918, v81
	s_delay_alu instid0(VALU_DEP_4) | instskip(SKIP_2) | instid1(VALU_DEP_4)
	v_fmac_f32_e32 v110, 0xbf167918, v69
	v_fma_f32 v6, -0.5, v104, v6
	v_dual_mul_f32 v104, 0x3f737871, v87 :: v_dual_fmac_f32 v1, 0x3f737871, v73
	v_fmac_f32_e32 v86, 0x3e9e377a, v89
	v_dual_fmamk_f32 v89, v81, 0xbf737871, v7 :: v_dual_add_f32 v88, v92, v109
	v_dual_fmac_f32 v110, 0x3e9e377a, v95 :: v_dual_fmac_f32 v101, 0x3e9e377a, v84
	s_delay_alu instid0(VALU_DEP_3) | instskip(SKIP_1) | instid1(VALU_DEP_4)
	v_mul_f32_e32 v109, 0xbe9e377a, v86
	v_fmac_f32_e32 v100, 0xbf737871, v69
	v_fmac_f32_e32 v89, 0xbf167918, v107
	v_fmamk_f32 v80, v71, 0x3f737871, v0
	v_fmac_f32_e32 v1, 0x3f167918, v69
	v_fmac_f32_e32 v7, 0x3f737871, v81
	v_fmac_f32_e32 v100, 0x3f167918, v73
	v_fmac_f32_e32 v89, 0x3e9e377a, v97
	v_fmac_f32_e32 v80, 0x3f167918, v68
	v_fmac_f32_e32 v1, 0x3e9e377a, v95
	v_fmac_f32_e32 v0, 0xbf737871, v71
	v_fmac_f32_e32 v100, 0x3e9e377a, v84
	v_fmamk_f32 v84, v105, 0xbf737871, v82
	v_fmac_f32_e32 v82, 0x3f737871, v105
	v_fmac_f32_e32 v7, 0x3f167918, v107
	;; [unrolled: 1-line block ×3, first 2 shown]
	v_dual_fmac_f32 v80, 0x3e9e377a, v94 :: v_dual_add_f32 v69, v114, v124
	s_delay_alu instid0(VALU_DEP_4) | instskip(NEXT) | instid1(VALU_DEP_3)
	v_fmac_f32_e32 v82, 0xbf167918, v15
	v_dual_fmac_f32 v7, 0x3e9e377a, v97 :: v_dual_fmac_f32 v0, 0x3e9e377a, v94
	v_fma_f32 v67, -0.5, v123, v9
	v_add_f32_e32 v68, v118, v127
	s_delay_alu instid0(VALU_DEP_4) | instskip(NEXT) | instid1(VALU_DEP_1)
	v_fmac_f32_e32 v82, 0x3e9e377a, v88
	v_fmac_f32_e32 v109, 0xbf737871, v82
	v_mul_f32_e32 v108, 0xbe9e377a, v82
	s_delay_alu instid0(VALU_DEP_2) | instskip(SKIP_1) | instid1(VALU_DEP_3)
	v_dual_sub_f32 v82, v83, v112 :: v_dual_add_f32 v93, v100, v109
	v_fmac_f32_e32 v84, 0x3f167918, v15
	v_fmac_f32_e32 v108, 0x3f737871, v86
	v_dual_add_f32 v86, v83, v112 :: v_dual_sub_f32 v83, v85, v113
	s_delay_alu instid0(VALU_DEP_3) | instskip(SKIP_2) | instid1(VALU_DEP_3)
	v_fmac_f32_e32 v84, 0x3e9e377a, v88
	v_fmamk_f32 v88, v15, 0x3f737871, v6
	v_fmac_f32_e32 v6, 0xbf737871, v15
	v_mul_f32_e32 v106, 0xbf737871, v84
	s_delay_alu instid0(VALU_DEP_2) | instskip(NEXT) | instid1(VALU_DEP_2)
	v_fmac_f32_e32 v6, 0xbf167918, v105
	v_dual_fmac_f32 v106, 0x3e9e377a, v87 :: v_dual_add_f32 v87, v85, v113
	s_delay_alu instid0(VALU_DEP_2) | instskip(NEXT) | instid1(VALU_DEP_2)
	v_fmac_f32_e32 v6, 0x3e9e377a, v96
	v_dual_add_f32 v92, v98, v108 :: v_dual_add_f32 v91, v101, v106
	s_delay_alu instid0(VALU_DEP_2) | instskip(NEXT) | instid1(VALU_DEP_1)
	v_mul_f32_e32 v15, 0xbf4f1bbd, v6
	v_dual_fmac_f32 v88, 0x3f167918, v105 :: v_dual_fmac_f32 v15, 0x3f167918, v7
	s_delay_alu instid0(VALU_DEP_1) | instskip(SKIP_1) | instid1(VALU_DEP_2)
	v_fmac_f32_e32 v88, 0x3e9e377a, v96
	v_mul_f32_e32 v7, 0xbf4f1bbd, v7
	v_mul_f32_e32 v103, 0xbf167918, v88
	;; [unrolled: 1-line block ×3, first 2 shown]
	s_delay_alu instid0(VALU_DEP_3) | instskip(SKIP_3) | instid1(VALU_DEP_4)
	v_fmac_f32_e32 v7, 0xbf167918, v6
	v_fmamk_f32 v6, v45, 0xbf737871, v67
	v_fmac_f32_e32 v67, 0x3f737871, v45
	v_fmac_f32_e32 v103, 0x3f4f1bbd, v89
	v_dual_fmac_f32 v102, 0x3f167918, v89 :: v_dual_add_f32 v81, v1, v7
	s_delay_alu instid0(VALU_DEP_4) | instskip(NEXT) | instid1(VALU_DEP_4)
	v_fmac_f32_e32 v6, 0xbf167918, v60
	v_fmac_f32_e32 v67, 0x3f167918, v60
	s_delay_alu instid0(VALU_DEP_3) | instskip(SKIP_4) | instid1(VALU_DEP_4)
	v_dual_sub_f32 v85, v110, v103 :: v_dual_add_f32 v88, v80, v102
	v_dual_fmac_f32 v104, 0x3e9e377a, v84 :: v_dual_add_f32 v89, v110, v103
	v_sub_f32_e32 v84, v80, v102
	v_fmac_f32_e32 v6, 0x3e9e377a, v68
	v_add_f32_e32 v80, v0, v15
	v_add_f32_e32 v90, v99, v104
	ds_store_b128 v18, v[86:89]
	ds_store_b128 v18, v[90:93] offset:16
	v_dual_sub_f32 v86, v99, v104 :: v_dual_sub_f32 v87, v101, v106
	scratch_store_b32 off, v18, off offset:252 ; 4-byte Folded Spill
	ds_store_b128 v18, v[80:83] offset:32
	ds_store_b128 v18, v[84:87] offset:48
	v_sub_f32_e32 v81, v0, v15
	v_fma_f32 v0, -0.5, v122, v8
	v_dual_sub_f32 v82, v1, v7 :: v_dual_add_f32 v7, v116, v125
	v_sub_f32_e32 v79, v98, v108
	s_delay_alu instid0(VALU_DEP_3) | instskip(SKIP_1) | instid1(VALU_DEP_2)
	v_fmamk_f32 v1, v44, 0x3f737871, v0
	v_fmac_f32_e32 v0, 0xbf737871, v44
	v_fmac_f32_e32 v1, 0x3f167918, v61
	s_delay_alu instid0(VALU_DEP_2) | instskip(NEXT) | instid1(VALU_DEP_2)
	v_fmac_f32_e32 v0, 0xbf167918, v61
	v_fmac_f32_e32 v1, 0x3e9e377a, v69
	s_delay_alu instid0(VALU_DEP_1)
	v_mul_f32_e32 v71, 0xbf167918, v1
	v_sub_f32_e32 v80, v100, v109
	v_mul_f32_e32 v73, 0x3f4f1bbd, v1
	v_add_f32_e32 v1, v17, v77
	v_add_co_u32 v17, s2, 0x51, v131
	v_fmac_f32_e32 v71, 0x3f4f1bbd, v6
	ds_store_b128 v18, v[79:82] offset:64
	v_fmamk_f32 v81, v21, 0xbf737871, v70
	v_fmac_f32_e32 v70, 0x3f737871, v21
	s_wait_alu 0xf1ff
	v_add_co_ci_u32_e64 v82, null, 0, 0, s2
	v_add_co_u32 v96, s2, 0xf3, v131
	v_fmac_f32_e32 v81, 0xbf167918, v19
	v_dual_fmac_f32 v70, 0x3f167918, v19 :: v_dual_add_f32 v19, v46, v58
	v_add_co_u32 v109, null, 0x144, v131
	s_delay_alu instid0(VALU_DEP_3) | instskip(SKIP_4) | instid1(VALU_DEP_4)
	v_fmac_f32_e32 v81, 0x3e9e377a, v66
	v_dual_fmac_f32 v73, 0x3f167918, v6 :: v_dual_add_f32 v6, v72, v76
	v_fma_f32 v72, -0.5, v74, v2
	v_fma_f32 v2, -0.5, v13, v2
	v_fmac_f32_e32 v70, 0x3e9e377a, v66
	v_fmac_f32_e32 v3, 0x3e9e377a, v6
	s_delay_alu instid0(VALU_DEP_4) | instskip(NEXT) | instid1(VALU_DEP_4)
	v_fmamk_f32 v74, v16, 0xbf737871, v72
	v_fmamk_f32 v80, v20, 0x3f737871, v2
	v_fmac_f32_e32 v2, 0xbf737871, v20
	v_fmac_f32_e32 v75, 0x3e9e377a, v6
	;; [unrolled: 1-line block ×6, first 2 shown]
	s_delay_alu instid0(VALU_DEP_3) | instskip(SKIP_1) | instid1(VALU_DEP_4)
	v_fmac_f32_e32 v74, 0x3e9e377a, v1
	v_fmac_f32_e32 v72, 0x3f737871, v16
	;; [unrolled: 1-line block ×3, first 2 shown]
	s_delay_alu instid0(VALU_DEP_4) | instskip(SKIP_1) | instid1(VALU_DEP_4)
	v_fmac_f32_e32 v2, 0x3e9e377a, v14
	v_mul_f32_e32 v14, 0xbf4f1bbd, v67
	v_fmac_f32_e32 v72, 0xbf167918, v20
	v_add_f32_e32 v20, v52, v59
	v_fmac_f32_e32 v0, 0x3e9e377a, v69
	s_delay_alu instid0(VALU_DEP_3) | instskip(SKIP_2) | instid1(VALU_DEP_4)
	v_fmac_f32_e32 v72, 0x3e9e377a, v1
	v_fma_f32 v1, -0.5, v115, v8
	v_fma_f32 v8, -0.5, v117, v9
	v_mul_f32_e32 v13, 0xbf4f1bbd, v0
	v_fmac_f32_e32 v14, 0xbf167918, v0
	s_delay_alu instid0(VALU_DEP_4) | instskip(NEXT) | instid1(VALU_DEP_4)
	v_fmamk_f32 v6, v61, 0xbf737871, v1
	v_fmamk_f32 v9, v60, 0x3f737871, v8
	v_fmac_f32_e32 v8, 0xbf737871, v60
	v_fmac_f32_e32 v1, 0x3f737871, v61
	s_delay_alu instid0(VALU_DEP_4) | instskip(NEXT) | instid1(VALU_DEP_4)
	v_dual_fmac_f32 v13, 0x3f167918, v67 :: v_dual_fmac_f32 v6, 0x3f167918, v44
	v_fmac_f32_e32 v9, 0xbf167918, v45
	s_delay_alu instid0(VALU_DEP_4) | instskip(NEXT) | instid1(VALU_DEP_4)
	v_fmac_f32_e32 v8, 0x3f167918, v45
	v_fmac_f32_e32 v1, 0xbf167918, v44
	s_delay_alu instid0(VALU_DEP_4) | instskip(NEXT) | instid1(VALU_DEP_2)
	v_fmac_f32_e32 v6, 0x3e9e377a, v7
	v_fmac_f32_e32 v1, 0x3e9e377a, v7
	v_add_f32_e32 v7, v119, v126
	s_delay_alu instid0(VALU_DEP_3) | instskip(NEXT) | instid1(VALU_DEP_2)
	v_mul_f32_e32 v79, 0xbf737871, v6
	v_fmac_f32_e32 v8, 0x3e9e377a, v7
	v_fmac_f32_e32 v9, 0x3e9e377a, v7
	v_mul_f32_e32 v76, 0xbe9e377a, v1
	v_add_f32_e32 v7, v23, v65
	s_delay_alu instid0(VALU_DEP_4) | instskip(NEXT) | instid1(VALU_DEP_4)
	v_mul_f32_e32 v77, 0xbe9e377a, v8
	v_mul_f32_e32 v78, 0x3f737871, v9
	v_fmac_f32_e32 v79, 0x3e9e377a, v9
	v_fmac_f32_e32 v76, 0x3f737871, v8
	v_add_f32_e32 v8, v80, v73
	v_fmac_f32_e32 v77, 0xbf737871, v1
	v_mul_u32_u24_e32 v1, 10, v17
	v_fmac_f32_e32 v78, 0x3e9e377a, v6
	v_dual_add_f32 v6, v22, v64 :: v_dual_add_f32 v9, v81, v71
	v_add_f32_e32 v85, v72, v76
	s_delay_alu instid0(VALU_DEP_4) | instskip(NEXT) | instid1(VALU_DEP_4)
	v_lshlrev_b32_e32 v1, 3, v1
	v_dual_add_f32 v83, v74, v78 :: v_dual_add_f32 v84, v75, v79
	v_add_f32_e32 v86, v3, v77
	ds_store_b128 v1, v[6:9]
	ds_store_b128 v1, v[83:86] offset:16
	v_sub_f32_e32 v9, v23, v65
	v_fma_f32 v23, -0.5, v37, v5
	v_dual_mov_b32 v15, v1 :: v_dual_sub_f32 v8, v22, v64
	v_add_f32_e32 v6, v2, v13
	s_delay_alu instid0(VALU_DEP_3) | instskip(SKIP_3) | instid1(VALU_DEP_4)
	v_dual_sub_f32 v2, v2, v13 :: v_dual_fmamk_f32 v37, v25, 0xbf737871, v23
	v_fma_f32 v13, -0.5, v56, v10
	v_sub_f32_e32 v83, v80, v73
	v_dual_sub_f32 v85, v74, v78 :: v_dual_sub_f32 v84, v81, v71
	v_fmac_f32_e32 v37, 0xbf167918, v30
	v_dual_add_f32 v7, v70, v14 :: v_dual_sub_f32 v86, v75, v79
	scratch_store_b32 off, v15, off offset:384 ; 4-byte Folded Spill
	ds_store_b128 v1, v[6:9] offset:32
	ds_store_b128 v1, v[83:86] offset:48
	v_fma_f32 v6, -0.5, v57, v11
	v_fmac_f32_e32 v11, -0.5, v54
	v_dual_fmamk_f32 v8, v40, 0x3f737871, v13 :: v_dual_sub_f32 v1, v3, v77
	s_delay_alu instid0(VALU_DEP_3) | instskip(NEXT) | instid1(VALU_DEP_3)
	v_dual_sub_f32 v0, v72, v76 :: v_dual_fmamk_f32 v9, v43, 0xbf737871, v6
	v_fmamk_f32 v7, v47, 0x3f737871, v11
	s_delay_alu instid0(VALU_DEP_3) | instskip(SKIP_1) | instid1(VALU_DEP_3)
	v_dual_fmac_f32 v8, 0x3f167918, v48 :: v_dual_sub_f32 v3, v70, v14
	v_dual_fmac_f32 v5, -0.5, v34 :: v_dual_fmac_f32 v6, 0x3f737871, v43
	v_fmac_f32_e32 v7, 0xbf167918, v43
	s_delay_alu instid0(VALU_DEP_3)
	v_fmac_f32_e32 v8, 0x3e9e377a, v19
	v_fmac_f32_e32 v23, 0x3f737871, v25
	;; [unrolled: 1-line block ×5, first 2 shown]
	v_mul_f32_e32 v21, 0x3f4f1bbd, v8
	ds_store_b128 v15, v[0:3] offset:64
	v_dual_add_f32 v0, v50, v63 :: v_dual_add_f32 v1, v55, v62
	v_add_f32_e32 v15, v27, v41
	v_dual_fmamk_f32 v27, v29, 0xbf737871, v26 :: v_dual_add_f32 v16, v36, v42
	v_fmamk_f32 v36, v24, 0x3f737871, v33
	v_fmac_f32_e32 v33, 0xbf737871, v24
	v_fma_f32 v2, -0.5, v49, v10
	v_fmac_f32_e32 v7, 0x3e9e377a, v1
	v_mul_f32_e32 v22, 0xbf167918, v8
	v_dual_fmac_f32 v36, 0x3f167918, v29 :: v_dual_fmac_f32 v23, 0x3f167918, v30
	v_fmac_f32_e32 v33, 0xbf167918, v29
	v_fmamk_f32 v3, v48, 0xbf737871, v2
	v_add_f32_e32 v8, v28, v39
	v_fmamk_f32 v28, v30, 0x3f737871, v5
	v_fmac_f32_e32 v5, 0xbf737871, v30
	v_fmac_f32_e32 v33, 0x3e9e377a, v15
	v_fmac_f32_e32 v13, 0xbf737871, v40
	v_mul_f32_e32 v34, 0x3f737871, v7
	v_fmac_f32_e32 v28, 0xbf167918, v25
	v_fmac_f32_e32 v27, 0x3f167918, v24
	v_dual_fmac_f32 v36, 0x3e9e377a, v15 :: v_dual_fmac_f32 v23, 0x3e9e377a, v16
	v_fmac_f32_e32 v13, 0xbf167918, v48
	v_fmac_f32_e32 v6, 0x3e9e377a, v20
	;; [unrolled: 1-line block ×10, first 2 shown]
	v_mul_f32_e32 v15, 0xbf4f1bbd, v13
	v_fmac_f32_e32 v21, 0x3f167918, v9
	s_delay_alu instid0(VALU_DEP_4) | instskip(NEXT) | instid1(VALU_DEP_4)
	v_dual_fmac_f32 v37, 0x3e9e377a, v16 :: v_dual_fmac_f32 v34, 0x3e9e377a, v3
	v_fmac_f32_e32 v11, 0x3e9e377a, v1
	s_delay_alu instid0(VALU_DEP_4) | instskip(SKIP_4) | instid1(VALU_DEP_4)
	v_fmac_f32_e32 v15, 0x3f167918, v6
	v_dual_mul_f32 v6, 0xbf4f1bbd, v6 :: v_dual_add_f32 v1, v32, v53
	v_fmac_f32_e32 v2, 0xbf167918, v40
	v_fmac_f32_e32 v5, 0x3f167918, v25
	v_and_b32_e32 v19, 0xffff, v129
	v_fmac_f32_e32 v6, 0xbf167918, v13
	v_fmac_f32_e32 v26, 0xbf167918, v24
	;; [unrolled: 1-line block ×3, first 2 shown]
	s_delay_alu instid0(VALU_DEP_2) | instskip(SKIP_1) | instid1(VALU_DEP_1)
	v_fmac_f32_e32 v26, 0x3e9e377a, v8
	v_dual_add_f32 v8, v35, v38 :: v_dual_mul_f32 v35, 0xbf737871, v3
	v_dual_add_f32 v3, v37, v22 :: v_dual_fmac_f32 v28, 0x3e9e377a, v8
	s_delay_alu instid0(VALU_DEP_2) | instskip(SKIP_1) | instid1(VALU_DEP_2)
	v_fmac_f32_e32 v35, 0x3e9e377a, v7
	v_mul_u32_u24_e32 v7, 10, v4
	v_dual_fmac_f32 v5, 0x3e9e377a, v8 :: v_dual_add_f32 v8, v28, v35
	s_delay_alu instid0(VALU_DEP_2) | instskip(SKIP_2) | instid1(VALU_DEP_2)
	v_dual_add_f32 v7, v27, v34 :: v_dual_lshlrev_b32 v18, 3, v7
	v_fmac_f32_e32 v2, 0x3e9e377a, v0
	v_add_f32_e32 v0, v31, v51
	v_mul_f32_e32 v14, 0xbe9e377a, v2
	s_delay_alu instid0(VALU_DEP_1) | instskip(SKIP_1) | instid1(VALU_DEP_2)
	v_fmac_f32_e32 v14, 0x3f737871, v11
	v_mul_f32_e32 v11, 0xbe9e377a, v11
	v_add_f32_e32 v9, v26, v14
	s_delay_alu instid0(VALU_DEP_2) | instskip(NEXT) | instid1(VALU_DEP_1)
	v_dual_fmac_f32 v11, 0xbf737871, v2 :: v_dual_add_f32 v2, v36, v21
	v_add_f32_e32 v10, v5, v11
	ds_store_b128 v18, v[0:3]
	ds_store_b128 v18, v[7:10] offset:16
	v_dual_sub_f32 v2, v31, v51 :: v_dual_sub_f32 v3, v32, v53
	v_dual_add_f32 v0, v33, v15 :: v_dual_add_f32 v1, v23, v6
	v_sub_f32_e32 v7, v36, v21
	v_sub_f32_e32 v9, v27, v34
	;; [unrolled: 1-line block ×4, first 2 shown]
	scratch_store_b32 off, v18, off offset:288 ; 4-byte Folded Spill
	ds_store_b128 v18, v[0:3] offset:32
	ds_store_b128 v18, v[7:10] offset:48
	v_dual_sub_f32 v1, v5, v11 :: v_dual_sub_f32 v0, v26, v14
	v_dual_sub_f32 v2, v33, v15 :: v_dual_sub_f32 v3, v23, v6
	v_and_b32_e32 v8, 0xff, v12
	v_and_b32_e32 v9, 0xff, v17
	;; [unrolled: 1-line block ×3, first 2 shown]
	s_wait_alu 0xf1ff
	v_add_co_ci_u32_e64 v35, null, 0, 0, s2
	ds_store_b128 v18, v[0:3] offset:64
	v_mul_lo_u16 v0, 0xcd, v8
	global_wb scope:SCOPE_SE
	s_wait_storecnt_dscnt 0x0
	s_barrier_signal -1
	s_barrier_wait -1
	global_inv scope:SCOPE_SE
	v_lshrrev_b16 v21, 11, v0
	v_mul_lo_u16 v0, 0xcd, v9
	v_add_co_u32 v18, null, 0x195, v131
	s_delay_alu instid0(VALU_DEP_2) | instskip(NEXT) | instid1(VALU_DEP_4)
	v_lshrrev_b16 v10, 11, v0
	v_mul_lo_u16 v0, v21, 10
	s_delay_alu instid0(VALU_DEP_2) | instskip(NEXT) | instid1(VALU_DEP_2)
	v_mul_lo_u16 v1, v10, 10
	v_sub_nc_u16 v0, v12, v0
	s_delay_alu instid0(VALU_DEP_2) | instskip(NEXT) | instid1(VALU_DEP_2)
	v_sub_nc_u16 v1, v17, v1
	v_and_b32_e32 v23, 0xff, v0
	s_delay_alu instid0(VALU_DEP_2) | instskip(NEXT) | instid1(VALU_DEP_2)
	v_and_b32_e32 v11, 0xff, v1
	v_lshlrev_b32_e32 v0, 4, v23
	s_delay_alu instid0(VALU_DEP_2)
	v_lshlrev_b32_e32 v1, 4, v11
	s_clause 0x1
	global_load_b128 v[28:31], v0, s[10:11]
	global_load_b128 v[13:16], v1, s[10:11]
	ds_load_2addr_b64 v[0:3], v245 offset0:42 offset1:123
	s_wait_loadcnt_dscnt 0x100
	v_mul_f32_e32 v5, v1, v29
	v_mul_f32_e32 v27, v0, v29
	scratch_store_b128 off, v[28:31], off offset:272 ; 16-byte Folded Spill
	s_wait_loadcnt 0x0
	scratch_store_b128 off, v[13:16], off offset:256 ; 16-byte Folded Spill
	v_fma_f32 v26, v0, v28, -v5
	v_mul_f32_e32 v0, v3, v14
	v_dual_mul_f32 v22, v2, v14 :: v_dual_fmac_f32 v27, v1, v28
	v_and_b32_e32 v14, 0xff, v4
	s_delay_alu instid0(VALU_DEP_3) | instskip(NEXT) | instid1(VALU_DEP_3)
	v_fma_f32 v20, v2, v13, -v0
	v_fmac_f32_e32 v22, v3, v13
	ds_load_2addr_b64 v[0:3], v136 offset0:84 offset1:165
	v_and_b32_e32 v13, 0xffff, v96
	s_wait_dscnt 0x0
	v_mul_f32_e32 v5, v1, v31
	v_mul_f32_e32 v29, v0, v31
	;; [unrolled: 1-line block ×3, first 2 shown]
	v_and_b32_e32 v31, 0xffff, v18
	s_delay_alu instid0(VALU_DEP_4) | instskip(NEXT) | instid1(VALU_DEP_4)
	v_fma_f32 v28, v0, v30, -v5
	v_dual_mul_f32 v0, v3, v16 :: v_dual_fmac_f32 v29, v1, v30
	s_delay_alu instid0(VALU_DEP_4) | instskip(NEXT) | instid1(VALU_DEP_3)
	v_dual_fmac_f32 v25, v3, v15 :: v_dual_and_b32 v30, 0xffff, v109
	v_sub_f32_e32 v98, v26, v28
	s_delay_alu instid0(VALU_DEP_3) | instskip(SKIP_3) | instid1(VALU_DEP_3)
	v_fma_f32 v24, v2, v15, -v0
	v_mul_u32_u24_e32 v0, 0xcccd, v13
	v_dual_mov_b32 v248, v132 :: v_dual_sub_f32 v97, v27, v29
	v_add_f32_e32 v15, v27, v29
	v_lshrrev_b32_e32 v7, 19, v0
	v_mul_lo_u16 v0, 0xcd, v14
	s_delay_alu instid0(VALU_DEP_4) | instskip(NEXT) | instid1(VALU_DEP_2)
	v_mov_b32_e32 v119, v248
	v_lshrrev_b16 v48, 11, v0
	s_delay_alu instid0(VALU_DEP_4) | instskip(NEXT) | instid1(VALU_DEP_1)
	v_mul_lo_u16 v0, v7, 10
	v_sub_nc_u16 v49, v96, v0
	s_delay_alu instid0(VALU_DEP_3) | instskip(NEXT) | instid1(VALU_DEP_2)
	v_mul_lo_u16 v0, v48, 10
	v_lshlrev_b16 v1, 1, v49
	s_delay_alu instid0(VALU_DEP_2) | instskip(NEXT) | instid1(VALU_DEP_2)
	v_sub_nc_u16 v0, v4, v0
	v_and_b32_e32 v1, 0xffff, v1
	s_delay_alu instid0(VALU_DEP_2) | instskip(NEXT) | instid1(VALU_DEP_2)
	v_and_b32_e32 v50, 0xff, v0
	v_lshlrev_b32_e32 v0, 3, v1
	s_delay_alu instid0(VALU_DEP_2)
	v_lshlrev_b32_e32 v1, 4, v50
	s_clause 0x1
	global_load_b128 v[172:175], v1, s[10:11]
	global_load_b128 v[168:171], v0, s[10:11]
	ds_load_2addr_b64 v[0:3], v253 offset0:76 offset1:157
	s_wait_loadcnt_dscnt 0x100
	v_mul_f32_e32 v5, v1, v173
	v_mul_f32_e32 v52, v0, v173
	s_wait_loadcnt 0x0
	v_mul_f32_e32 v54, v2, v169
	s_delay_alu instid0(VALU_DEP_3) | instskip(SKIP_2) | instid1(VALU_DEP_4)
	v_fma_f32 v51, v0, v172, -v5
	v_mul_f32_e32 v0, v3, v169
	v_fmac_f32_e32 v52, v1, v172
	v_fmac_f32_e32 v54, v3, v168
	s_delay_alu instid0(VALU_DEP_3)
	v_fma_f32 v53, v2, v168, -v0
	ds_load_2addr_b64 v[0:3], v244 offset0:118 offset1:199
	s_wait_dscnt 0x0
	v_mul_f32_e32 v5, v1, v175
	v_mul_f32_e32 v56, v0, v175
	;; [unrolled: 1-line block ×3, first 2 shown]
	s_delay_alu instid0(VALU_DEP_3) | instskip(SKIP_1) | instid1(VALU_DEP_4)
	v_fma_f32 v55, v0, v174, -v5
	v_mul_f32_e32 v0, v3, v171
	v_fmac_f32_e32 v56, v1, v174
	s_delay_alu instid0(VALU_DEP_4) | instskip(SKIP_1) | instid1(VALU_DEP_4)
	v_fmac_f32_e32 v58, v3, v170
	v_add_f32_e32 v16, v26, v28
	v_fma_f32 v57, v2, v170, -v0
	v_mul_u32_u24_e32 v0, 0xcccd, v30
	s_delay_alu instid0(VALU_DEP_1) | instskip(SKIP_1) | instid1(VALU_DEP_1)
	v_lshrrev_b32_e32 v59, 19, v0
	v_mul_u32_u24_e32 v0, 0xcccd, v31
	v_lshrrev_b32_e32 v60, 19, v0
	s_delay_alu instid0(VALU_DEP_3) | instskip(NEXT) | instid1(VALU_DEP_1)
	v_mul_lo_u16 v0, v59, 10
	v_sub_nc_u16 v61, v109, v0
	s_delay_alu instid0(VALU_DEP_3) | instskip(NEXT) | instid1(VALU_DEP_1)
	v_mul_lo_u16 v0, v60, 10
	v_sub_nc_u16 v62, v18, v0
	s_delay_alu instid0(VALU_DEP_3) | instskip(NEXT) | instid1(VALU_DEP_2)
	v_lshlrev_b16 v0, 1, v61
	v_lshlrev_b16 v1, 1, v62
	s_delay_alu instid0(VALU_DEP_2) | instskip(NEXT) | instid1(VALU_DEP_2)
	v_and_b32_e32 v0, 0xffff, v0
	v_and_b32_e32 v1, 0xffff, v1
	s_delay_alu instid0(VALU_DEP_2) | instskip(NEXT) | instid1(VALU_DEP_2)
	v_lshlrev_b32_e32 v0, 3, v0
	v_lshlrev_b32_e32 v1, 3, v1
	s_clause 0x1
	global_load_b128 v[180:183], v0, s[10:11]
	global_load_b128 v[176:179], v1, s[10:11]
	ds_load_2addr_b64 v[0:3], v246 offset0:110 offset1:191
	s_wait_loadcnt_dscnt 0x100
	v_mul_f32_e32 v5, v1, v181
	v_mul_f32_e32 v64, v0, v181
	s_wait_loadcnt 0x0
	v_mul_f32_e32 v66, v2, v177
	s_delay_alu instid0(VALU_DEP_3) | instskip(SKIP_2) | instid1(VALU_DEP_4)
	v_fma_f32 v63, v0, v180, -v5
	v_mul_f32_e32 v0, v3, v177
	v_fmac_f32_e32 v64, v1, v180
	v_fmac_f32_e32 v66, v3, v176
	s_delay_alu instid0(VALU_DEP_3)
	v_fma_f32 v65, v2, v176, -v0
	ds_load_2addr_b64 v[0:3], v254 offset0:152 offset1:233
	s_wait_dscnt 0x0
	v_mul_f32_e32 v5, v1, v183
	v_mul_f32_e32 v68, v0, v183
	v_mul_f32_e32 v70, v2, v179
	s_delay_alu instid0(VALU_DEP_3) | instskip(SKIP_1) | instid1(VALU_DEP_4)
	v_fma_f32 v67, v0, v182, -v5
	v_mul_f32_e32 v0, v3, v179
	v_fmac_f32_e32 v68, v1, v182
	s_delay_alu instid0(VALU_DEP_4) | instskip(NEXT) | instid1(VALU_DEP_3)
	v_fmac_f32_e32 v70, v3, v178
	v_fma_f32 v69, v2, v178, -v0
	v_mul_u32_u24_e32 v0, 0xcccd, v19
	s_delay_alu instid0(VALU_DEP_1) | instskip(SKIP_1) | instid1(VALU_DEP_1)
	v_lshrrev_b32_e32 v71, 19, v0
	v_mul_u32_u24_e32 v0, 0xcccd, v32
	v_lshrrev_b32_e32 v72, 19, v0
	s_delay_alu instid0(VALU_DEP_3) | instskip(NEXT) | instid1(VALU_DEP_1)
	v_mul_lo_u16 v0, v71, 10
	v_sub_nc_u16 v73, v129, v0
	s_delay_alu instid0(VALU_DEP_3) | instskip(NEXT) | instid1(VALU_DEP_1)
	v_mul_lo_u16 v0, v72, 10
	v_sub_nc_u16 v74, v130, v0
	s_delay_alu instid0(VALU_DEP_3) | instskip(NEXT) | instid1(VALU_DEP_2)
	v_lshlrev_b16 v0, 1, v73
	v_lshlrev_b16 v1, 1, v74
	s_delay_alu instid0(VALU_DEP_2) | instskip(NEXT) | instid1(VALU_DEP_2)
	v_and_b32_e32 v0, 0xffff, v0
	v_and_b32_e32 v1, 0xffff, v1
	s_delay_alu instid0(VALU_DEP_2) | instskip(NEXT) | instid1(VALU_DEP_2)
	v_lshlrev_b32_e32 v0, 3, v0
	v_lshlrev_b32_e32 v1, 3, v1
	s_clause 0x1
	global_load_b128 v[188:191], v0, s[10:11]
	global_load_b128 v[184:187], v1, s[10:11]
	ds_load_2addr_b64 v[0:3], v247 offset0:16 offset1:97
	s_wait_loadcnt_dscnt 0x100
	v_mul_f32_e32 v5, v1, v189
	v_mul_f32_e32 v76, v0, v189
	s_wait_loadcnt 0x0
	v_mul_f32_e32 v78, v2, v185
	s_delay_alu instid0(VALU_DEP_3) | instskip(SKIP_2) | instid1(VALU_DEP_4)
	v_fma_f32 v75, v0, v188, -v5
	v_mul_f32_e32 v0, v3, v185
	v_fmac_f32_e32 v76, v1, v188
	v_fmac_f32_e32 v78, v3, v184
	s_delay_alu instid0(VALU_DEP_3) | instskip(SKIP_4) | instid1(VALU_DEP_2)
	v_fma_f32 v77, v2, v184, -v0
	ds_load_2addr_b64 v[0:3], v132 offset0:58 offset1:139
	s_wait_dscnt 0x0
	v_mul_f32_e32 v80, v0, v191
	v_mul_f32_e32 v5, v1, v191
	v_dual_mul_f32 v83, v2, v187 :: v_dual_fmac_f32 v80, v1, v190
	v_mov_b32_e32 v1, v131
	s_delay_alu instid0(VALU_DEP_3) | instskip(SKIP_1) | instid1(VALU_DEP_4)
	v_fma_f32 v79, v0, v190, -v5
	v_mul_f32_e32 v0, v3, v187
	v_fmac_f32_e32 v83, v3, v186
	s_delay_alu instid0(VALU_DEP_4) | instskip(SKIP_1) | instid1(VALU_DEP_4)
	v_add_co_u32 v131, null, 0x288, v1
	v_add_co_u32 v108, null, 0x2d9, v1
	v_fma_f32 v81, v2, v186, -v0
	s_delay_alu instid0(VALU_DEP_3) | instskip(NEXT) | instid1(VALU_DEP_3)
	v_and_b32_e32 v33, 0xffff, v131
	v_dual_mov_b32 v99, v1 :: v_dual_and_b32 v34, 0xffff, v108
	s_delay_alu instid0(VALU_DEP_2) | instskip(NEXT) | instid1(VALU_DEP_2)
	v_mul_u32_u24_e32 v0, 0xcccd, v33
	v_mov_b32_e32 v208, v99
	s_delay_alu instid0(VALU_DEP_2) | instskip(NEXT) | instid1(VALU_DEP_4)
	v_lshrrev_b32_e32 v84, 19, v0
	v_mul_u32_u24_e32 v0, 0xcccd, v34
	s_delay_alu instid0(VALU_DEP_1) | instskip(NEXT) | instid1(VALU_DEP_3)
	v_lshrrev_b32_e32 v85, 19, v0
	v_mul_lo_u16 v0, v84, 10
	s_delay_alu instid0(VALU_DEP_1) | instskip(NEXT) | instid1(VALU_DEP_3)
	v_sub_nc_u16 v86, v131, v0
	v_mul_lo_u16 v0, v85, 10
	s_delay_alu instid0(VALU_DEP_1) | instskip(NEXT) | instid1(VALU_DEP_3)
	v_sub_nc_u16 v87, v108, v0
	v_lshlrev_b16 v0, 1, v86
	s_delay_alu instid0(VALU_DEP_2) | instskip(NEXT) | instid1(VALU_DEP_2)
	v_lshlrev_b16 v1, 1, v87
	v_and_b32_e32 v0, 0xffff, v0
	s_delay_alu instid0(VALU_DEP_2) | instskip(NEXT) | instid1(VALU_DEP_2)
	v_and_b32_e32 v1, 0xffff, v1
	v_lshlrev_b32_e32 v0, 3, v0
	s_delay_alu instid0(VALU_DEP_2)
	v_lshlrev_b32_e32 v1, 3, v1
	s_clause 0x1
	global_load_b128 v[196:199], v0, s[10:11]
	global_load_b128 v[192:195], v1, s[10:11]
	ds_load_2addr_b64 v[0:3], v255 offset0:50 offset1:131
	s_wait_loadcnt_dscnt 0x100
	v_mul_f32_e32 v5, v1, v197
	v_mul_f32_e32 v89, v0, v197
	s_wait_loadcnt 0x0
	v_mul_f32_e32 v91, v2, v193
	s_delay_alu instid0(VALU_DEP_3) | instskip(NEXT) | instid1(VALU_DEP_3)
	v_fma_f32 v88, v0, v196, -v5
	v_dual_mul_f32 v0, v3, v193 :: v_dual_fmac_f32 v89, v1, v196
	s_delay_alu instid0(VALU_DEP_3) | instskip(NEXT) | instid1(VALU_DEP_2)
	v_fmac_f32_e32 v91, v3, v192
	v_fma_f32 v90, v2, v192, -v0
	ds_load_2addr_b64 v[0:3], v232 offset0:92 offset1:173
	s_wait_dscnt 0x0
	v_mul_f32_e32 v5, v1, v199
	v_mul_f32_e32 v93, v0, v199
	;; [unrolled: 1-line block ×3, first 2 shown]
	s_delay_alu instid0(VALU_DEP_3) | instskip(NEXT) | instid1(VALU_DEP_3)
	v_fma_f32 v92, v0, v198, -v5
	v_dual_mul_f32 v0, v3, v195 :: v_dual_fmac_f32 v93, v1, v198
	s_delay_alu instid0(VALU_DEP_3) | instskip(NEXT) | instid1(VALU_DEP_2)
	v_fmac_f32_e32 v95, v3, v194
	v_fma_f32 v94, v2, v194, -v0
	ds_load_2addr_b64 v[0:3], v128 offset1:81
	s_wait_dscnt 0x0
	v_add_f32_e32 v5, v1, v27
	v_fma_f32 v1, -0.5, v15, v1
	v_and_b32_e32 v15, 0xffff, v21
	s_delay_alu instid0(VALU_DEP_3) | instskip(NEXT) | instid1(VALU_DEP_2)
	v_dual_add_f32 v6, v5, v29 :: v_dual_add_f32 v5, v0, v26
	v_mul_u32_u24_e32 v15, 30, v15
	v_fma_f32 v0, -0.5, v16, v0
	v_fmamk_f32 v16, v98, 0xbf5db3d7, v1
	v_fmac_f32_e32 v1, 0x3f5db3d7, v98
	v_add_f32_e32 v5, v5, v28
	v_add_lshl_u32 v21, v15, v23, 3
	v_fmamk_f32 v15, v97, 0x3f5db3d7, v0
	v_fmac_f32_e32 v0, 0xbf5db3d7, v97
	v_dual_mov_b32 v98, v136 :: v_dual_lshlrev_b32 v97, 4, v99
	scratch_store_b32 off, v21, off offset:528 ; 4-byte Folded Spill
	ds_load_2addr_b64 v[26:29], v128 offset0:162 offset1:243
	ds_load_2addr_b64 v[36:39], v207 offset0:68 offset1:149
	;; [unrolled: 1-line block ×4, first 2 shown]
	global_wb scope:SCOPE_SE
	s_wait_storecnt_dscnt 0x0
	s_barrier_signal -1
	s_barrier_wait -1
	global_inv scope:SCOPE_SE
	ds_store_b64 v21, v[0:1] offset:160
	v_add_f32_e32 v0, v20, v24
	ds_store_2addr_b64 v21, v[5:6], v[15:16] offset1:10
	v_add_f32_e32 v5, v2, v20
	v_add_f32_e32 v6, v22, v25
	v_sub_f32_e32 v15, v22, v25
	v_fma_f32 v2, -0.5, v0, v2
	v_add_f32_e32 v0, v3, v22
	s_delay_alu instid0(VALU_DEP_4) | instskip(NEXT) | instid1(VALU_DEP_2)
	v_dual_sub_f32 v16, v20, v24 :: v_dual_fmac_f32 v3, -0.5, v6
	v_dual_add_f32 v1, v0, v25 :: v_dual_add_f32 v0, v5, v24
	v_and_b32_e32 v5, 0xffff, v10
	s_delay_alu instid0(VALU_DEP_3) | instskip(SKIP_1) | instid1(VALU_DEP_3)
	v_fmamk_f32 v6, v16, 0xbf5db3d7, v3
	v_fmac_f32_e32 v3, 0x3f5db3d7, v16
	v_mul_u32_u24_e32 v5, 30, v5
	s_delay_alu instid0(VALU_DEP_1)
	v_add_lshl_u32 v10, v5, v11, 3
	v_fmamk_f32 v5, v15, 0x3f5db3d7, v2
	v_fmac_f32_e32 v2, 0xbf5db3d7, v15
	v_sub_f32_e32 v11, v51, v55
	scratch_store_b32 off, v10, off offset:524 ; 4-byte Folded Spill
	ds_store_2addr_b64 v10, v[0:1], v[5:6] offset1:10
	ds_store_b64 v10, v[2:3] offset:160
	v_dual_add_f32 v3, v52, v56 :: v_dual_add_f32 v2, v51, v55
	v_and_b32_e32 v5, 0xffff, v48
	v_sub_f32_e32 v10, v52, v56
	s_delay_alu instid0(VALU_DEP_3) | instskip(NEXT) | instid1(VALU_DEP_4)
	v_fma_f32 v3, -0.5, v3, v27
	v_fma_f32 v2, -0.5, v2, v26
	s_delay_alu instid0(VALU_DEP_4) | instskip(NEXT) | instid1(VALU_DEP_3)
	v_mul_u32_u24_e32 v5, 30, v5
	v_fmamk_f32 v6, v11, 0xbf5db3d7, v3
	v_fmac_f32_e32 v3, 0x3f5db3d7, v11
	s_delay_alu instid0(VALU_DEP_3)
	v_add_lshl_u32 v15, v5, v50, 3
	v_fmamk_f32 v5, v10, 0x3f5db3d7, v2
	v_fmac_f32_e32 v2, 0xbf5db3d7, v10
	v_sub_f32_e32 v10, v63, v67
	ds_store_b64 v15, v[2:3] offset:160
	v_mad_u16 v3, v7, 30, v49
	v_add_f32_e32 v0, v27, v52
	s_delay_alu instid0(VALU_DEP_2) | instskip(NEXT) | instid1(VALU_DEP_2)
	v_dual_add_f32 v2, v28, v53 :: v_dual_and_b32 v7, 0xffff, v3
	v_dual_add_f32 v1, v0, v56 :: v_dual_add_f32 v0, v26, v51
	s_delay_alu instid0(VALU_DEP_2) | instskip(NEXT) | instid1(VALU_DEP_2)
	v_lshlrev_b32_e32 v7, 3, v7
	v_add_f32_e32 v0, v0, v55
	scratch_store_b32 off, v7, off offset:516 ; 4-byte Folded Spill
	ds_store_2addr_b64 v15, v[0:1], v[5:6] offset1:10
	v_dual_add_f32 v0, v53, v57 :: v_dual_add_f32 v5, v54, v58
	v_sub_f32_e32 v6, v54, v58
	s_delay_alu instid0(VALU_DEP_2) | instskip(NEXT) | instid1(VALU_DEP_3)
	v_fma_f32 v28, -0.5, v0, v28
	v_dual_add_f32 v0, v29, v54 :: v_dual_fmac_f32 v29, -0.5, v5
	v_sub_f32_e32 v5, v53, v57
	s_delay_alu instid0(VALU_DEP_2) | instskip(NEXT) | instid1(VALU_DEP_4)
	v_dual_add_f32 v1, v0, v58 :: v_dual_add_f32 v0, v2, v57
	v_fmamk_f32 v2, v6, 0x3f5db3d7, v28
	s_delay_alu instid0(VALU_DEP_3)
	v_dual_fmamk_f32 v3, v5, 0xbf5db3d7, v29 :: v_dual_fmac_f32 v28, 0xbf5db3d7, v6
	v_fmac_f32_e32 v29, 0x3f5db3d7, v5
	v_mad_u16 v5, v59, 30, v61
	ds_store_2addr_b64 v7, v[0:1], v[2:3] offset1:10
	v_dual_add_f32 v3, v64, v68 :: v_dual_add_f32 v2, v63, v67
	ds_store_b64 v7, v[28:29] offset:160
	v_sub_f32_e32 v7, v64, v68
	v_and_b32_e32 v11, 0xffff, v5
	v_fma_f32 v3, -0.5, v3, v37
	v_fma_f32 v2, -0.5, v2, v36
	s_delay_alu instid0(VALU_DEP_3) | instskip(NEXT) | instid1(VALU_DEP_3)
	v_dual_add_f32 v0, v37, v64 :: v_dual_lshlrev_b32 v11, 3, v11
	v_fmamk_f32 v6, v10, 0xbf5db3d7, v3
	s_delay_alu instid0(VALU_DEP_3)
	v_fmamk_f32 v5, v7, 0x3f5db3d7, v2
	v_fmac_f32_e32 v2, 0xbf5db3d7, v7
	v_fmac_f32_e32 v3, 0x3f5db3d7, v10
	v_add_f32_e32 v1, v0, v68
	v_add_f32_e32 v0, v36, v63
	v_sub_f32_e32 v10, v75, v79
	ds_store_b64 v11, v[2:3] offset:160
	v_mad_u16 v3, v60, 30, v62
	v_add_f32_e32 v0, v0, v67
	s_delay_alu instid0(VALU_DEP_2) | instskip(NEXT) | instid1(VALU_DEP_1)
	v_dual_add_f32 v2, v38, v65 :: v_dual_and_b32 v7, 0xffff, v3
	v_lshlrev_b32_e32 v7, 3, v7
	ds_store_2addr_b64 v11, v[0:1], v[5:6] offset1:10
	v_dual_add_f32 v0, v65, v69 :: v_dual_add_f32 v5, v66, v70
	s_clause 0x1
	scratch_store_b32 off, v11, off offset:512
	scratch_store_b32 off, v7, off offset:508
	v_sub_f32_e32 v6, v66, v70
	v_fma_f32 v38, -0.5, v0, v38
	v_dual_add_f32 v0, v39, v66 :: v_dual_fmac_f32 v39, -0.5, v5
	v_sub_f32_e32 v5, v65, v69
	s_delay_alu instid0(VALU_DEP_2) | instskip(NEXT) | instid1(VALU_DEP_2)
	v_add_f32_e32 v1, v0, v70
	v_fmamk_f32 v3, v5, 0xbf5db3d7, v39
	v_fmac_f32_e32 v39, 0x3f5db3d7, v5
	v_mad_u16 v5, v71, 30, v73
	s_delay_alu instid0(VALU_DEP_1) | instskip(NEXT) | instid1(VALU_DEP_1)
	v_and_b32_e32 v11, 0xffff, v5
	v_dual_add_f32 v0, v2, v69 :: v_dual_lshlrev_b32 v11, 3, v11
	v_fmamk_f32 v2, v6, 0x3f5db3d7, v38
	v_fmac_f32_e32 v38, 0xbf5db3d7, v6
	ds_store_2addr_b64 v7, v[0:1], v[2:3] offset1:10
	v_dual_add_f32 v3, v76, v80 :: v_dual_add_f32 v2, v75, v79
	ds_store_b64 v7, v[38:39] offset:160
	v_sub_f32_e32 v7, v76, v80
	v_fma_f32 v3, -0.5, v3, v41
	v_fma_f32 v2, -0.5, v2, v40
	s_delay_alu instid0(VALU_DEP_2) | instskip(NEXT) | instid1(VALU_DEP_2)
	v_fmamk_f32 v6, v10, 0xbf5db3d7, v3
	v_fmamk_f32 v5, v7, 0x3f5db3d7, v2
	v_fmac_f32_e32 v2, 0xbf5db3d7, v7
	v_dual_fmac_f32 v3, 0x3f5db3d7, v10 :: v_dual_sub_f32 v10, v88, v92
	ds_store_b64 v11, v[2:3] offset:160
	v_mad_u16 v3, v72, 30, v74
	v_add_f32_e32 v0, v41, v76
	s_delay_alu instid0(VALU_DEP_2) | instskip(NEXT) | instid1(VALU_DEP_2)
	v_dual_add_f32 v2, v42, v77 :: v_dual_and_b32 v7, 0xffff, v3
	v_add_f32_e32 v1, v0, v80
	v_add_f32_e32 v0, v40, v75
	s_delay_alu instid0(VALU_DEP_3)
	v_lshlrev_b32_e32 v7, 3, v7
	scratch_store_b32 off, v11, off offset:504 ; 4-byte Folded Spill
	v_add_f32_e32 v0, v0, v79
	scratch_store_b32 off, v7, off offset:500 ; 4-byte Folded Spill
	ds_store_2addr_b64 v11, v[0:1], v[5:6] offset1:10
	v_dual_add_f32 v0, v77, v81 :: v_dual_add_f32 v5, v78, v83
	v_sub_f32_e32 v6, v78, v83
	s_delay_alu instid0(VALU_DEP_2) | instskip(NEXT) | instid1(VALU_DEP_3)
	v_fma_f32 v42, -0.5, v0, v42
	v_dual_add_f32 v0, v43, v78 :: v_dual_fmac_f32 v43, -0.5, v5
	v_sub_f32_e32 v5, v77, v81
	s_delay_alu instid0(VALU_DEP_1) | instskip(SKIP_2) | instid1(VALU_DEP_1)
	v_fmamk_f32 v3, v5, 0xbf5db3d7, v43
	v_fmac_f32_e32 v43, 0x3f5db3d7, v5
	v_mad_u16 v5, v84, 30, v86
	v_and_b32_e32 v11, 0xffff, v5
	v_add_f32_e32 v1, v0, v83
	s_delay_alu instid0(VALU_DEP_2)
	v_dual_add_f32 v0, v2, v81 :: v_dual_lshlrev_b32 v11, 3, v11
	v_fmamk_f32 v2, v6, 0x3f5db3d7, v42
	v_fmac_f32_e32 v42, 0xbf5db3d7, v6
	ds_store_2addr_b64 v7, v[0:1], v[2:3] offset1:10
	v_dual_add_f32 v3, v89, v93 :: v_dual_add_f32 v2, v88, v92
	ds_store_b64 v7, v[42:43] offset:160
	v_sub_f32_e32 v7, v89, v93
	v_add_f32_e32 v0, v45, v89
	v_fma_f32 v3, -0.5, v3, v45
	v_fma_f32 v2, -0.5, v2, v44
	s_delay_alu instid0(VALU_DEP_2) | instskip(NEXT) | instid1(VALU_DEP_2)
	v_dual_add_f32 v1, v0, v93 :: v_dual_fmamk_f32 v6, v10, 0xbf5db3d7, v3
	v_fmamk_f32 v5, v7, 0x3f5db3d7, v2
	v_fmac_f32_e32 v2, 0xbf5db3d7, v7
	v_fmac_f32_e32 v3, 0x3f5db3d7, v10
	ds_store_b64 v11, v[2:3] offset:160
	v_mad_u16 v3, v85, 30, v87
	v_add_f32_e32 v0, v44, v88
	s_delay_alu instid0(VALU_DEP_2) | instskip(NEXT) | instid1(VALU_DEP_1)
	v_dual_add_f32 v2, v46, v90 :: v_dual_and_b32 v7, 0xffff, v3
	v_dual_add_f32 v0, v0, v92 :: v_dual_lshlrev_b32 v7, 3, v7
	ds_store_2addr_b64 v11, v[0:1], v[5:6] offset1:10
	v_dual_add_f32 v0, v90, v94 :: v_dual_add_f32 v5, v91, v95
	v_sub_f32_e32 v6, v91, v95
	s_clause 0x2
	scratch_store_b32 off, v15, off offset:520
	scratch_store_b32 off, v11, off offset:496
	;; [unrolled: 1-line block ×3, first 2 shown]
	v_fma_f32 v46, -0.5, v0, v46
	v_dual_add_f32 v0, v47, v91 :: v_dual_fmac_f32 v47, -0.5, v5
	v_sub_f32_e32 v5, v90, v94
	s_delay_alu instid0(VALU_DEP_2) | instskip(NEXT) | instid1(VALU_DEP_4)
	v_dual_add_f32 v1, v0, v95 :: v_dual_add_f32 v0, v2, v94
	v_fmamk_f32 v2, v6, 0x3f5db3d7, v46
	s_delay_alu instid0(VALU_DEP_3)
	v_dual_fmamk_f32 v3, v5, 0xbf5db3d7, v47 :: v_dual_fmac_f32 v46, 0xbf5db3d7, v6
	v_fmac_f32_e32 v47, 0x3f5db3d7, v5
	ds_store_2addr_b64 v7, v[0:1], v[2:3] offset1:10
	v_mul_lo_u16 v0, 0x89, v8
	v_mul_lo_u16 v1, 0x89, v9
	ds_store_b64 v7, v[46:47] offset:160
	global_wb scope:SCOPE_SE
	s_wait_storecnt_dscnt 0x0
	s_barrier_signal -1
	v_lshrrev_b16 v7, 12, v0
	v_lshrrev_b16 v11, 12, v1
	s_barrier_wait -1
	global_inv scope:SCOPE_SE
	v_mul_lo_u16 v0, v7, 30
	v_mul_lo_u16 v1, v11, 30
	v_and_b32_e32 v7, 0xffff, v7
	s_delay_alu instid0(VALU_DEP_3) | instskip(NEXT) | instid1(VALU_DEP_3)
	v_sub_nc_u16 v0, v12, v0
	v_sub_nc_u16 v1, v17, v1
	s_delay_alu instid0(VALU_DEP_3) | instskip(NEXT) | instid1(VALU_DEP_3)
	v_mul_u32_u24_e32 v7, 0x5a, v7
	v_and_b32_e32 v8, 0xff, v0
	s_delay_alu instid0(VALU_DEP_3) | instskip(NEXT) | instid1(VALU_DEP_2)
	v_and_b32_e32 v28, 0xff, v1
	v_lshlrev_b32_e32 v0, 4, v8
	s_delay_alu instid0(VALU_DEP_2)
	v_lshlrev_b32_e32 v1, 4, v28
	s_clause 0x1
	global_load_b128 v[132:135], v0, s[10:11] offset:160
	global_load_b128 v[104:107], v1, s[10:11] offset:160
	ds_load_2addr_b64 v[0:3], v245 offset0:42 offset1:123
	v_add_lshl_u32 v95, v7, v8, 3
	s_wait_loadcnt_dscnt 0x100
	v_mul_f32_e32 v5, v1, v133
	v_mul_f32_e32 v10, v0, v133
	s_wait_loadcnt 0x0
	v_mul_f32_e32 v40, v2, v105
	s_delay_alu instid0(VALU_DEP_3) | instskip(SKIP_2) | instid1(VALU_DEP_4)
	v_fma_f32 v9, v0, v132, -v5
	v_mul_f32_e32 v0, v3, v105
	v_fmac_f32_e32 v10, v1, v132
	v_fmac_f32_e32 v40, v3, v104
	s_delay_alu instid0(VALU_DEP_3)
	v_fma_f32 v29, v2, v104, -v0
	ds_load_2addr_b64 v[0:3], v136 offset0:84 offset1:165
	s_wait_dscnt 0x0
	v_mul_f32_e32 v5, v1, v135
	v_mul_f32_e32 v16, v0, v135
	;; [unrolled: 1-line block ×3, first 2 shown]
	s_delay_alu instid0(VALU_DEP_3) | instskip(NEXT) | instid1(VALU_DEP_3)
	v_fma_f32 v15, v0, v134, -v5
	v_fmac_f32_e32 v16, v1, v134
	s_delay_alu instid0(VALU_DEP_2) | instskip(SKIP_1) | instid1(VALU_DEP_1)
	v_dual_fmac_f32 v42, v3, v106 :: v_dual_sub_f32 v93, v9, v15
	v_mul_f32_e32 v0, v3, v107
	v_fma_f32 v41, v2, v106, -v0
	v_mul_u32_u24_e32 v0, 0x8889, v13
	s_delay_alu instid0(VALU_DEP_1) | instskip(SKIP_1) | instid1(VALU_DEP_1)
	v_lshrrev_b32_e32 v43, 20, v0
	v_mul_lo_u16 v0, 0x89, v14
	v_lshrrev_b16 v44, 12, v0
	s_delay_alu instid0(VALU_DEP_3) | instskip(NEXT) | instid1(VALU_DEP_1)
	v_mul_lo_u16 v0, v43, 30
	v_sub_nc_u16 v45, v96, v0
	s_delay_alu instid0(VALU_DEP_3) | instskip(NEXT) | instid1(VALU_DEP_2)
	v_mul_lo_u16 v0, v44, 30
	v_lshlrev_b16 v1, 4, v45
	s_delay_alu instid0(VALU_DEP_2) | instskip(NEXT) | instid1(VALU_DEP_2)
	v_sub_nc_u16 v0, v4, v0
	v_and_b32_e32 v1, 0xffff, v1
	s_delay_alu instid0(VALU_DEP_2) | instskip(NEXT) | instid1(VALU_DEP_2)
	v_and_b32_e32 v46, 0xff, v0
	v_add_co_u32 v0, s2, s10, v1
	s_wait_alu 0xf1ff
	v_add_co_ci_u32_e64 v1, null, s11, 0, s2
	s_delay_alu instid0(VALU_DEP_3)
	v_lshlrev_b32_e32 v2, 4, v46
	s_clause 0x1
	global_load_b128 v[136:139], v[0:1], off offset:160
	global_load_b128 v[140:143], v2, s[10:11] offset:160
	ds_load_2addr_b64 v[0:3], v253 offset0:76 offset1:157
	s_wait_loadcnt_dscnt 0x100
	v_mul_f32_e32 v50, v2, v137
	s_wait_loadcnt 0x0
	v_mul_f32_e32 v5, v1, v141
	v_mul_f32_e32 v48, v0, v141
	s_delay_alu instid0(VALU_DEP_3) | instskip(NEXT) | instid1(VALU_DEP_3)
	v_fmac_f32_e32 v50, v3, v136
	v_fma_f32 v47, v0, v140, -v5
	v_mul_f32_e32 v0, v3, v137
	s_delay_alu instid0(VALU_DEP_4) | instskip(NEXT) | instid1(VALU_DEP_2)
	v_fmac_f32_e32 v48, v1, v140
	v_fma_f32 v49, v2, v136, -v0
	ds_load_2addr_b64 v[0:3], v244 offset0:118 offset1:199
	s_wait_dscnt 0x0
	v_mul_f32_e32 v5, v1, v143
	v_mul_f32_e32 v52, v0, v143
	;; [unrolled: 1-line block ×3, first 2 shown]
	s_delay_alu instid0(VALU_DEP_3) | instskip(SKIP_1) | instid1(VALU_DEP_4)
	v_fma_f32 v51, v0, v142, -v5
	v_mul_f32_e32 v0, v3, v139
	v_fmac_f32_e32 v52, v1, v142
	s_delay_alu instid0(VALU_DEP_4) | instskip(NEXT) | instid1(VALU_DEP_3)
	v_fmac_f32_e32 v54, v3, v138
	v_fma_f32 v53, v2, v138, -v0
	v_mul_u32_u24_e32 v0, 0x8889, v30
	s_delay_alu instid0(VALU_DEP_1) | instskip(SKIP_1) | instid1(VALU_DEP_1)
	v_lshrrev_b32_e32 v55, 20, v0
	v_mul_u32_u24_e32 v0, 0x8889, v31
	v_lshrrev_b32_e32 v56, 20, v0
	s_delay_alu instid0(VALU_DEP_3) | instskip(NEXT) | instid1(VALU_DEP_1)
	v_mul_lo_u16 v0, v55, 30
	v_sub_nc_u16 v57, v109, v0
	s_delay_alu instid0(VALU_DEP_3) | instskip(NEXT) | instid1(VALU_DEP_1)
	v_mul_lo_u16 v0, v56, 30
	v_sub_nc_u16 v58, v18, v0
	s_delay_alu instid0(VALU_DEP_3) | instskip(NEXT) | instid1(VALU_DEP_2)
	v_lshlrev_b16 v0, 4, v57
	v_lshlrev_b16 v1, 4, v58
	s_delay_alu instid0(VALU_DEP_2) | instskip(NEXT) | instid1(VALU_DEP_2)
	v_and_b32_e32 v0, 0xffff, v0
	v_and_b32_e32 v2, 0xffff, v1
	s_delay_alu instid0(VALU_DEP_2) | instskip(SKIP_2) | instid1(VALU_DEP_3)
	v_add_co_u32 v0, s2, s10, v0
	s_wait_alu 0xf1ff
	v_add_co_ci_u32_e64 v1, null, s11, 0, s2
	v_add_co_u32 v2, s2, s10, v2
	s_wait_alu 0xf1ff
	v_add_co_ci_u32_e64 v3, null, s11, 0, s2
	s_clause 0x1
	global_load_b128 v[148:151], v[0:1], off offset:160
	global_load_b128 v[144:147], v[2:3], off offset:160
	ds_load_2addr_b64 v[0:3], v246 offset0:110 offset1:191
	s_wait_loadcnt_dscnt 0x100
	v_mul_f32_e32 v5, v1, v149
	v_mul_f32_e32 v60, v0, v149
	s_wait_loadcnt 0x0
	v_mul_f32_e32 v62, v2, v145
	s_delay_alu instid0(VALU_DEP_3) | instskip(SKIP_2) | instid1(VALU_DEP_4)
	v_fma_f32 v59, v0, v148, -v5
	v_mul_f32_e32 v0, v3, v145
	v_fmac_f32_e32 v60, v1, v148
	v_fmac_f32_e32 v62, v3, v144
	s_delay_alu instid0(VALU_DEP_3)
	v_fma_f32 v61, v2, v144, -v0
	ds_load_2addr_b64 v[0:3], v254 offset0:152 offset1:233
	s_wait_dscnt 0x0
	v_mul_f32_e32 v5, v1, v151
	v_mul_f32_e32 v64, v0, v151
	;; [unrolled: 1-line block ×3, first 2 shown]
	s_delay_alu instid0(VALU_DEP_3) | instskip(SKIP_1) | instid1(VALU_DEP_4)
	v_fma_f32 v63, v0, v150, -v5
	v_mul_f32_e32 v0, v3, v147
	v_fmac_f32_e32 v64, v1, v150
	s_delay_alu instid0(VALU_DEP_4) | instskip(NEXT) | instid1(VALU_DEP_3)
	v_fmac_f32_e32 v66, v3, v146
	v_fma_f32 v65, v2, v146, -v0
	v_mul_u32_u24_e32 v0, 0x8889, v19
	s_delay_alu instid0(VALU_DEP_1) | instskip(SKIP_1) | instid1(VALU_DEP_1)
	v_lshrrev_b32_e32 v67, 20, v0
	v_mul_u32_u24_e32 v0, 0x8889, v32
	v_lshrrev_b32_e32 v68, 20, v0
	s_delay_alu instid0(VALU_DEP_3) | instskip(NEXT) | instid1(VALU_DEP_1)
	v_mul_lo_u16 v0, v67, 30
	v_sub_nc_u16 v69, v129, v0
	s_delay_alu instid0(VALU_DEP_3) | instskip(NEXT) | instid1(VALU_DEP_1)
	v_mul_lo_u16 v0, v68, 30
	v_sub_nc_u16 v70, v130, v0
	s_delay_alu instid0(VALU_DEP_3) | instskip(NEXT) | instid1(VALU_DEP_2)
	v_lshlrev_b16 v0, 4, v69
	v_lshlrev_b16 v1, 4, v70
	s_delay_alu instid0(VALU_DEP_2) | instskip(NEXT) | instid1(VALU_DEP_2)
	v_and_b32_e32 v0, 0xffff, v0
	v_and_b32_e32 v2, 0xffff, v1
	s_delay_alu instid0(VALU_DEP_2) | instskip(SKIP_2) | instid1(VALU_DEP_3)
	v_add_co_u32 v0, s2, s10, v0
	s_wait_alu 0xf1ff
	v_add_co_ci_u32_e64 v1, null, s11, 0, s2
	v_add_co_u32 v2, s2, s10, v2
	s_wait_alu 0xf1ff
	v_add_co_ci_u32_e64 v3, null, s11, 0, s2
	s_clause 0x1
	global_load_b128 v[156:159], v[0:1], off offset:160
	global_load_b128 v[152:155], v[2:3], off offset:160
	ds_load_2addr_b64 v[0:3], v247 offset0:16 offset1:97
	s_wait_loadcnt_dscnt 0x100
	v_mul_f32_e32 v5, v1, v157
	v_mul_f32_e32 v72, v0, v157
	s_wait_loadcnt 0x0
	v_mul_f32_e32 v74, v2, v153
	s_delay_alu instid0(VALU_DEP_3) | instskip(SKIP_2) | instid1(VALU_DEP_4)
	v_fma_f32 v71, v0, v156, -v5
	v_mul_f32_e32 v0, v3, v153
	v_fmac_f32_e32 v72, v1, v156
	v_fmac_f32_e32 v74, v3, v152
	s_delay_alu instid0(VALU_DEP_3)
	v_fma_f32 v73, v2, v152, -v0
	ds_load_2addr_b64 v[0:3], v248 offset0:58 offset1:139
	s_wait_dscnt 0x0
	v_mul_f32_e32 v5, v1, v159
	v_mul_f32_e32 v76, v0, v159
	;; [unrolled: 1-line block ×3, first 2 shown]
	s_delay_alu instid0(VALU_DEP_3) | instskip(SKIP_1) | instid1(VALU_DEP_4)
	v_fma_f32 v75, v0, v158, -v5
	v_mul_f32_e32 v0, v3, v155
	v_fmac_f32_e32 v76, v1, v158
	s_delay_alu instid0(VALU_DEP_4) | instskip(NEXT) | instid1(VALU_DEP_3)
	v_fmac_f32_e32 v78, v3, v154
	v_fma_f32 v77, v2, v154, -v0
	v_mul_u32_u24_e32 v0, 0x8889, v33
	s_delay_alu instid0(VALU_DEP_1) | instskip(SKIP_1) | instid1(VALU_DEP_1)
	v_lshrrev_b32_e32 v79, 20, v0
	v_mul_u32_u24_e32 v0, 0x8889, v34
	v_lshrrev_b32_e32 v80, 20, v0
	s_delay_alu instid0(VALU_DEP_3) | instskip(NEXT) | instid1(VALU_DEP_1)
	v_mul_lo_u16 v0, v79, 30
	v_sub_nc_u16 v81, v131, v0
	s_delay_alu instid0(VALU_DEP_3) | instskip(NEXT) | instid1(VALU_DEP_1)
	v_mul_lo_u16 v0, v80, 30
	v_sub_nc_u16 v83, v108, v0
	s_delay_alu instid0(VALU_DEP_3) | instskip(NEXT) | instid1(VALU_DEP_2)
	v_lshlrev_b16 v0, 4, v81
	v_lshlrev_b16 v1, 4, v83
	s_delay_alu instid0(VALU_DEP_2) | instskip(NEXT) | instid1(VALU_DEP_2)
	v_and_b32_e32 v0, 0xffff, v0
	v_and_b32_e32 v2, 0xffff, v1
	s_delay_alu instid0(VALU_DEP_2) | instskip(SKIP_2) | instid1(VALU_DEP_3)
	v_add_co_u32 v0, s2, s10, v0
	s_wait_alu 0xf1ff
	v_add_co_ci_u32_e64 v1, null, s11, 0, s2
	v_add_co_u32 v2, s2, s10, v2
	s_wait_alu 0xf1ff
	v_add_co_ci_u32_e64 v3, null, s11, 0, s2
	s_clause 0x1
	global_load_b128 v[164:167], v[0:1], off offset:160
	global_load_b128 v[160:163], v[2:3], off offset:160
	ds_load_2addr_b64 v[0:3], v255 offset0:50 offset1:131
	scratch_store_b32 off, v95, off offset:488 ; 4-byte Folded Spill
	s_wait_loadcnt_dscnt 0x100
	v_mul_f32_e32 v5, v1, v165
	v_mul_f32_e32 v85, v0, v165
	s_wait_loadcnt 0x0
	v_mul_f32_e32 v87, v2, v161
	s_delay_alu instid0(VALU_DEP_3) | instskip(NEXT) | instid1(VALU_DEP_3)
	v_fma_f32 v84, v0, v164, -v5
	v_dual_mul_f32 v0, v3, v161 :: v_dual_fmac_f32 v85, v1, v164
	s_delay_alu instid0(VALU_DEP_3) | instskip(NEXT) | instid1(VALU_DEP_2)
	v_fmac_f32_e32 v87, v3, v160
	v_fma_f32 v86, v2, v160, -v0
	ds_load_2addr_b64 v[0:3], v232 offset0:92 offset1:173
	s_wait_dscnt 0x0
	v_mul_f32_e32 v5, v1, v167
	v_mul_f32_e32 v89, v0, v167
	;; [unrolled: 1-line block ×3, first 2 shown]
	v_sub_f32_e32 v92, v10, v16
	s_delay_alu instid0(VALU_DEP_4) | instskip(NEXT) | instid1(VALU_DEP_4)
	v_fma_f32 v88, v0, v166, -v5
	v_dual_mul_f32 v0, v3, v163 :: v_dual_fmac_f32 v89, v1, v166
	s_delay_alu instid0(VALU_DEP_4) | instskip(NEXT) | instid1(VALU_DEP_2)
	v_fmac_f32_e32 v91, v3, v162
	v_fma_f32 v90, v2, v162, -v0
	ds_load_2addr_b64 v[0:3], v128 offset1:81
	s_wait_dscnt 0x0
	v_add_f32_e32 v6, v1, v10
	v_dual_add_f32 v10, v10, v16 :: v_dual_add_f32 v5, v0, v9
	s_delay_alu instid0(VALU_DEP_2) | instskip(SKIP_1) | instid1(VALU_DEP_3)
	v_add_f32_e32 v6, v6, v16
	v_add_f32_e32 v16, v9, v15
	v_fma_f32 v1, -0.5, v10, v1
	s_delay_alu instid0(VALU_DEP_4)
	v_add_f32_e32 v5, v5, v15
	ds_load_2addr_b64 v[7:10], v128 offset0:162 offset1:243
	ds_load_2addr_b64 v[20:23], v207 offset0:68 offset1:149
	;; [unrolled: 1-line block ×4, first 2 shown]
	global_wb scope:SCOPE_SE
	s_wait_storecnt_dscnt 0x0
	v_fma_f32 v0, -0.5, v16, v0
	s_barrier_signal -1
	s_barrier_wait -1
	global_inv scope:SCOPE_SE
	v_fmamk_f32 v15, v92, 0x3f5db3d7, v0
	v_fmac_f32_e32 v0, 0xbf5db3d7, v92
	v_fmamk_f32 v16, v93, 0xbf5db3d7, v1
	v_fmac_f32_e32 v1, 0x3f5db3d7, v93
	ds_store_2addr_b64 v95, v[5:6], v[15:16] offset1:30
	ds_store_b64 v95, v[0:1] offset:480
	v_add_f32_e32 v0, v29, v41
	v_add_f32_e32 v1, v2, v29
	v_add_f32_e32 v5, v3, v40
	v_dual_sub_f32 v15, v40, v42 :: v_dual_sub_f32 v16, v29, v41
	s_delay_alu instid0(VALU_DEP_4) | instskip(NEXT) | instid1(VALU_DEP_4)
	v_fma_f32 v2, -0.5, v0, v2
	v_add_f32_e32 v0, v1, v41
	s_delay_alu instid0(VALU_DEP_4) | instskip(SKIP_1) | instid1(VALU_DEP_1)
	v_add_f32_e32 v1, v5, v42
	v_add_f32_e32 v5, v40, v42
	v_fmac_f32_e32 v3, -0.5, v5
	v_and_b32_e32 v5, 0xffff, v11
	s_delay_alu instid0(VALU_DEP_2) | instskip(NEXT) | instid1(VALU_DEP_2)
	v_fmamk_f32 v6, v16, 0xbf5db3d7, v3
	v_mul_u32_u24_e32 v5, 0x5a, v5
	v_fmac_f32_e32 v3, 0x3f5db3d7, v16
	s_delay_alu instid0(VALU_DEP_2)
	v_add_lshl_u32 v11, v5, v28, 3
	v_fmamk_f32 v5, v15, 0x3f5db3d7, v2
	v_fmac_f32_e32 v2, 0xbf5db3d7, v15
	scratch_store_b32 off, v11, off offset:484 ; 4-byte Folded Spill
	ds_store_2addr_b64 v11, v[0:1], v[5:6] offset1:30
	ds_store_b64 v11, v[2:3] offset:480
	v_dual_add_f32 v3, v48, v52 :: v_dual_add_f32 v2, v47, v51
	v_dual_add_f32 v0, v7, v47 :: v_dual_and_b32 v5, 0xffff, v44
	v_add_f32_e32 v1, v8, v48
	v_sub_f32_e32 v11, v48, v52
	s_delay_alu instid0(VALU_DEP_4) | instskip(SKIP_4) | instid1(VALU_DEP_3)
	v_fma_f32 v2, -0.5, v2, v7
	v_fma_f32 v3, -0.5, v3, v8
	v_sub_f32_e32 v7, v47, v51
	v_mul_u32_u24_e32 v5, 0x5a, v5
	v_dual_add_f32 v0, v0, v51 :: v_dual_add_f32 v1, v1, v52
	v_fmamk_f32 v6, v7, 0xbf5db3d7, v3
	s_delay_alu instid0(VALU_DEP_3)
	v_add_lshl_u32 v8, v5, v46, 3
	v_fmamk_f32 v5, v11, 0x3f5db3d7, v2
	v_fmac_f32_e32 v2, 0xbf5db3d7, v11
	v_fmac_f32_e32 v3, 0x3f5db3d7, v7
	ds_store_2addr_b64 v8, v[0:1], v[5:6] offset1:30
	v_add_f32_e32 v0, v49, v53
	ds_store_b64 v8, v[2:3] offset:480
	v_dual_add_f32 v1, v9, v49 :: v_dual_add_f32 v2, v10, v50
	v_add_f32_e32 v3, v50, v54
	v_fma_f32 v9, -0.5, v0, v9
	s_delay_alu instid0(VALU_DEP_3) | instskip(NEXT) | instid1(VALU_DEP_4)
	v_dual_sub_f32 v5, v50, v54 :: v_dual_add_f32 v0, v1, v53
	v_add_f32_e32 v1, v2, v54
	v_mad_u16 v2, 0x5a, v43, v45
	v_fmac_f32_e32 v10, -0.5, v3
	s_delay_alu instid0(VALU_DEP_2) | instskip(SKIP_1) | instid1(VALU_DEP_2)
	v_dual_sub_f32 v6, v49, v53 :: v_dual_and_b32 v7, 0xffff, v2
	v_fmamk_f32 v2, v5, 0x3f5db3d7, v9
	v_fmamk_f32 v3, v6, 0xbf5db3d7, v10
	v_fmac_f32_e32 v9, 0xbf5db3d7, v5
	s_delay_alu instid0(VALU_DEP_4)
	v_dual_fmac_f32 v10, 0x3f5db3d7, v6 :: v_dual_lshlrev_b32 v7, 3, v7
	v_mad_u16 v5, 0x5a, v55, v57
	scratch_store_b32 off, v8, off offset:480 ; 4-byte Folded Spill
	v_sub_f32_e32 v8, v59, v63
	ds_store_2addr_b64 v7, v[0:1], v[2:3] offset1:30
	v_dual_add_f32 v0, v59, v63 :: v_dual_add_f32 v1, v60, v64
	v_add_f32_e32 v2, v21, v60
	scratch_store_b32 off, v7, off offset:476 ; 4-byte Folded Spill
	ds_store_b64 v7, v[9:10] offset:480
	v_fma_f32 v0, -0.5, v0, v20
	v_fma_f32 v1, -0.5, v1, v21
	v_sub_f32_e32 v7, v60, v64
	v_dual_add_f32 v3, v2, v64 :: v_dual_add_f32 v2, v20, v59
	v_and_b32_e32 v9, 0xffff, v5
	s_delay_alu instid0(VALU_DEP_4) | instskip(NEXT) | instid1(VALU_DEP_4)
	v_fmamk_f32 v6, v8, 0xbf5db3d7, v1
	v_fmamk_f32 v5, v7, 0x3f5db3d7, v0
	v_fmac_f32_e32 v0, 0xbf5db3d7, v7
	s_delay_alu instid0(VALU_DEP_4)
	v_dual_add_f32 v2, v2, v63 :: v_dual_lshlrev_b32 v9, 3, v9
	v_dual_fmac_f32 v1, 0x3f5db3d7, v8 :: v_dual_sub_f32 v8, v71, v75
	ds_store_2addr_b64 v9, v[2:3], v[5:6] offset1:30
	ds_store_b64 v9, v[0:1] offset:480
	v_add_f32_e32 v0, v61, v65
	v_mad_u16 v3, 0x5a, v56, v58
	v_add_f32_e32 v5, v62, v66
	v_add_f32_e32 v2, v22, v61
	v_sub_f32_e32 v6, v62, v66
	v_fma_f32 v22, -0.5, v0, v22
	s_delay_alu instid0(VALU_DEP_4) | instskip(SKIP_2) | instid1(VALU_DEP_3)
	v_dual_add_f32 v0, v23, v62 :: v_dual_fmac_f32 v23, -0.5, v5
	v_sub_f32_e32 v5, v61, v65
	v_and_b32_e32 v7, 0xffff, v3
	v_dual_add_f32 v1, v0, v66 :: v_dual_add_f32 v0, v2, v65
	v_fmamk_f32 v2, v6, 0x3f5db3d7, v22
	s_delay_alu instid0(VALU_DEP_4) | instskip(NEXT) | instid1(VALU_DEP_4)
	v_fmamk_f32 v3, v5, 0xbf5db3d7, v23
	v_dual_fmac_f32 v22, 0xbf5db3d7, v6 :: v_dual_lshlrev_b32 v7, 3, v7
	v_fmac_f32_e32 v23, 0x3f5db3d7, v5
	v_mad_u16 v5, 0x5a, v67, v69
	s_clause 0x1
	scratch_store_b32 off, v9, off offset:472
	scratch_store_b32 off, v7, off offset:468
	ds_store_2addr_b64 v7, v[0:1], v[2:3] offset1:30
	v_dual_add_f32 v3, v72, v76 :: v_dual_add_f32 v2, v71, v75
	ds_store_b64 v7, v[22:23] offset:480
	v_dual_add_f32 v0, v24, v71 :: v_dual_add_f32 v1, v25, v72
	v_sub_f32_e32 v7, v72, v76
	v_fma_f32 v2, -0.5, v2, v24
	v_fma_f32 v3, -0.5, v3, v25
	s_delay_alu instid0(VALU_DEP_4) | instskip(SKIP_1) | instid1(VALU_DEP_4)
	v_dual_add_f32 v0, v0, v75 :: v_dual_and_b32 v9, 0xffff, v5
	v_add_f32_e32 v1, v1, v76
	v_fmamk_f32 v5, v7, 0x3f5db3d7, v2
	s_delay_alu instid0(VALU_DEP_3)
	v_dual_fmamk_f32 v6, v8, 0xbf5db3d7, v3 :: v_dual_lshlrev_b32 v9, 3, v9
	v_fmac_f32_e32 v2, 0xbf5db3d7, v7
	v_fmac_f32_e32 v3, 0x3f5db3d7, v8
	v_sub_f32_e32 v8, v84, v88
	ds_store_2addr_b64 v9, v[0:1], v[5:6] offset1:30
	v_add_f32_e32 v0, v73, v77
	ds_store_b64 v9, v[2:3] offset:480
	v_mad_u16 v3, 0x5a, v68, v70
	v_add_f32_e32 v5, v74, v78
	v_add_f32_e32 v2, v26, v73
	v_fma_f32 v26, -0.5, v0, v26
	v_add_f32_e32 v0, v27, v74
	s_delay_alu instid0(VALU_DEP_4) | instskip(SKIP_2) | instid1(VALU_DEP_4)
	v_dual_sub_f32 v6, v74, v78 :: v_dual_fmac_f32 v27, -0.5, v5
	v_sub_f32_e32 v5, v73, v77
	v_and_b32_e32 v7, 0xffff, v3
	v_dual_add_f32 v1, v0, v78 :: v_dual_add_f32 v0, v2, v77
	s_delay_alu instid0(VALU_DEP_4) | instskip(NEXT) | instid1(VALU_DEP_4)
	v_fmamk_f32 v2, v6, 0x3f5db3d7, v26
	v_fmamk_f32 v3, v5, 0xbf5db3d7, v27
	s_delay_alu instid0(VALU_DEP_4)
	v_dual_fmac_f32 v26, 0xbf5db3d7, v6 :: v_dual_lshlrev_b32 v7, 3, v7
	v_fmac_f32_e32 v27, 0x3f5db3d7, v5
	v_mad_u16 v5, 0x5a, v79, v81
	s_clause 0x1
	scratch_store_b32 off, v9, off offset:448
	scratch_store_b32 off, v7, off offset:444
	ds_store_2addr_b64 v7, v[0:1], v[2:3] offset1:30
	v_dual_add_f32 v3, v85, v89 :: v_dual_add_f32 v2, v84, v88
	ds_store_b64 v7, v[26:27] offset:480
	v_dual_add_f32 v0, v36, v84 :: v_dual_add_f32 v1, v37, v85
	v_sub_f32_e32 v7, v85, v89
	v_fma_f32 v2, -0.5, v2, v36
	v_fma_f32 v3, -0.5, v3, v37
	s_delay_alu instid0(VALU_DEP_4) | instskip(SKIP_1) | instid1(VALU_DEP_4)
	v_dual_add_f32 v0, v0, v88 :: v_dual_and_b32 v9, 0xffff, v5
	v_add_f32_e32 v1, v1, v89
	v_fmamk_f32 v5, v7, 0x3f5db3d7, v2
	s_delay_alu instid0(VALU_DEP_3)
	v_dual_fmamk_f32 v6, v8, 0xbf5db3d7, v3 :: v_dual_lshlrev_b32 v9, 3, v9
	v_fmac_f32_e32 v2, 0xbf5db3d7, v7
	v_fmac_f32_e32 v3, 0x3f5db3d7, v8
	ds_store_2addr_b64 v9, v[0:1], v[5:6] offset1:30
	v_add_f32_e32 v0, v86, v90
	ds_store_b64 v9, v[2:3] offset:480
	v_mad_u16 v3, 0x5a, v80, v83
	v_dual_add_f32 v5, v87, v91 :: v_dual_add_f32 v2, v38, v86
	v_fma_f32 v38, -0.5, v0, v38
	v_add_f32_e32 v0, v39, v87
	s_delay_alu instid0(VALU_DEP_3) | instskip(SKIP_2) | instid1(VALU_DEP_4)
	v_dual_sub_f32 v6, v87, v91 :: v_dual_fmac_f32 v39, -0.5, v5
	v_sub_f32_e32 v5, v86, v90
	v_and_b32_e32 v7, 0xffff, v3
	v_dual_add_f32 v1, v0, v91 :: v_dual_add_f32 v0, v2, v90
	s_delay_alu instid0(VALU_DEP_4) | instskip(NEXT) | instid1(VALU_DEP_4)
	v_fmamk_f32 v2, v6, 0x3f5db3d7, v38
	v_fmamk_f32 v3, v5, 0xbf5db3d7, v39
	s_delay_alu instid0(VALU_DEP_4)
	v_dual_fmac_f32 v38, 0xbf5db3d7, v6 :: v_dual_lshlrev_b32 v7, 3, v7
	v_fmac_f32_e32 v39, 0x3f5db3d7, v5
	s_clause 0x1
	scratch_store_b32 off, v9, off offset:440
	scratch_store_b32 off, v7, off offset:436
	ds_store_2addr_b64 v7, v[0:1], v[2:3] offset1:30
	v_add_co_u32 v0, s2, v99, -9
	s_wait_alu 0xf1ff
	v_add_co_ci_u32_e64 v1, null, 0, -1, s2
	ds_store_b64 v7, v[38:39] offset:480
	v_cndmask_b32_e32 v5, v0, v17, vcc_lo
	global_wb scope:SCOPE_SE
	s_wait_storecnt_dscnt 0x0
	v_cndmask_b32_e32 v6, v1, v82, vcc_lo
	s_barrier_signal -1
	s_barrier_wait -1
	global_inv scope:SCOPE_SE
	scratch_store_b32 off, v208, off offset:248 ; 4-byte Folded Spill
	v_lshlrev_b64_e32 v[0:1], 4, v[5:6]
	s_delay_alu instid0(VALU_DEP_1) | instskip(SKIP_1) | instid1(VALU_DEP_2)
	v_add_co_u32 v0, vcc_lo, s10, v0
	s_wait_alu 0xfffd
	v_add_co_ci_u32_e32 v1, vcc_lo, s11, v1, vcc_lo
	s_clause 0x1
	global_load_b128 v[68:71], v[0:1], off offset:640
	global_load_b128 v[88:91], v97, s[10:11] offset:640
	ds_load_2addr_b64 v[0:3], v245 offset0:42 offset1:123
	v_cmp_lt_u16_e32 vcc_lo, 8, v12
	s_wait_loadcnt_dscnt 0x100
	v_mul_f32_e32 v36, v2, v69
	s_wait_loadcnt 0x0
	v_mul_f32_e32 v6, v1, v89
	s_delay_alu instid0(VALU_DEP_2) | instskip(NEXT) | instid1(VALU_DEP_2)
	v_dual_mul_f32 v7, v0, v89 :: v_dual_fmac_f32 v36, v3, v68
	v_fma_f32 v6, v0, v88, -v6
	s_delay_alu instid0(VALU_DEP_2) | instskip(NEXT) | instid1(VALU_DEP_1)
	v_dual_mul_f32 v0, v3, v69 :: v_dual_fmac_f32 v7, v1, v88
	v_fma_f32 v11, v2, v68, -v0
	ds_load_2addr_b64 v[0:3], v98 offset0:84 offset1:165
	s_wait_dscnt 0x0
	v_mul_f32_e32 v8, v1, v91
	v_mul_f32_e32 v9, v0, v91
	;; [unrolled: 1-line block ×3, first 2 shown]
	s_delay_alu instid0(VALU_DEP_3) | instskip(NEXT) | instid1(VALU_DEP_3)
	v_fma_f32 v8, v0, v90, -v8
	v_dual_mul_f32 v0, v3, v71 :: v_dual_fmac_f32 v9, v1, v90
	v_mul_lo_u16 v1, 0xb7, v14
	s_delay_alu instid0(VALU_DEP_4) | instskip(NEXT) | instid1(VALU_DEP_3)
	v_fmac_f32_e32 v38, v3, v70
	v_fma_f32 v37, v2, v70, -v0
	v_mul_u32_u24_e32 v0, 0x2d83, v13
	s_delay_alu instid0(VALU_DEP_4) | instskip(SKIP_1) | instid1(VALU_DEP_3)
	v_lshrrev_b16 v40, 14, v1
	v_sub_f32_e32 v206, v7, v9
	v_lshrrev_b32_e32 v39, 20, v0
	s_delay_alu instid0(VALU_DEP_1) | instskip(NEXT) | instid1(VALU_DEP_1)
	v_mul_lo_u16 v0, 0x5a, v39
	v_sub_nc_u16 v41, v96, v0
	v_mul_lo_u16 v0, 0x5a, v40
	s_delay_alu instid0(VALU_DEP_2) | instskip(NEXT) | instid1(VALU_DEP_2)
	v_lshlrev_b16 v1, 4, v41
	v_sub_nc_u16 v0, v4, v0
	s_delay_alu instid0(VALU_DEP_2) | instskip(NEXT) | instid1(VALU_DEP_2)
	v_and_b32_e32 v1, 0xffff, v1
	v_and_b32_e32 v42, 0xff, v0
	s_delay_alu instid0(VALU_DEP_2) | instskip(SKIP_2) | instid1(VALU_DEP_3)
	v_add_co_u32 v0, s2, s10, v1
	s_wait_alu 0xf1ff
	v_add_co_ci_u32_e64 v1, null, s11, 0, s2
	v_lshlrev_b32_e32 v2, 4, v42
	s_clause 0x1
	global_load_b128 v[60:63], v[0:1], off offset:640
	global_load_b128 v[84:87], v2, s[10:11] offset:640
	ds_load_2addr_b64 v[0:3], v253 offset0:76 offset1:157
	s_wait_loadcnt_dscnt 0x100
	v_mul_f32_e32 v46, v2, v61
	s_delay_alu instid0(VALU_DEP_1) | instskip(SKIP_3) | instid1(VALU_DEP_2)
	v_fmac_f32_e32 v46, v3, v60
	s_wait_loadcnt 0x0
	v_mul_f32_e32 v10, v1, v85
	v_mul_f32_e32 v44, v0, v85
	v_fma_f32 v43, v0, v84, -v10
	v_mul_f32_e32 v0, v3, v61
	s_delay_alu instid0(VALU_DEP_3) | instskip(NEXT) | instid1(VALU_DEP_2)
	v_fmac_f32_e32 v44, v1, v84
	v_fma_f32 v45, v2, v60, -v0
	ds_load_2addr_b64 v[0:3], v244 offset0:118 offset1:199
	s_wait_dscnt 0x0
	v_mul_f32_e32 v10, v1, v87
	v_mul_f32_e32 v76, v0, v87
	;; [unrolled: 1-line block ×3, first 2 shown]
	s_delay_alu instid0(VALU_DEP_3) | instskip(SKIP_1) | instid1(VALU_DEP_4)
	v_fma_f32 v47, v0, v86, -v10
	v_mul_f32_e32 v0, v3, v63
	v_fmac_f32_e32 v76, v1, v86
	v_mul_u32_u24_e32 v1, 0x2d83, v31
	v_fmac_f32_e32 v78, v3, v62
	v_mov_b32_e32 v248, v98
	v_fma_f32 v77, v2, v62, -v0
	v_mul_u32_u24_e32 v0, 0x2d83, v30
	v_lshrrev_b32_e32 v92, 20, v1
	s_delay_alu instid0(VALU_DEP_2) | instskip(NEXT) | instid1(VALU_DEP_1)
	v_lshrrev_b32_e32 v79, 20, v0
	v_mul_lo_u16 v0, 0x5a, v79
	s_delay_alu instid0(VALU_DEP_1) | instskip(NEXT) | instid1(VALU_DEP_4)
	v_sub_nc_u16 v93, v109, v0
	v_mul_lo_u16 v0, 0x5a, v92
	s_delay_alu instid0(VALU_DEP_1) | instskip(NEXT) | instid1(VALU_DEP_3)
	v_sub_nc_u16 v94, v18, v0
	v_lshlrev_b16 v0, 4, v93
	s_delay_alu instid0(VALU_DEP_2) | instskip(NEXT) | instid1(VALU_DEP_2)
	v_lshlrev_b16 v1, 4, v94
	v_and_b32_e32 v0, 0xffff, v0
	s_delay_alu instid0(VALU_DEP_2) | instskip(NEXT) | instid1(VALU_DEP_2)
	v_and_b32_e32 v2, 0xffff, v1
	v_add_co_u32 v0, s2, s10, v0
	s_wait_alu 0xf1ff
	v_add_co_ci_u32_e64 v1, null, s11, 0, s2
	s_delay_alu instid0(VALU_DEP_3)
	v_add_co_u32 v2, s2, s10, v2
	s_wait_alu 0xf1ff
	v_add_co_ci_u32_e64 v3, null, s11, 0, s2
	s_clause 0x1
	global_load_b128 v[80:83], v[0:1], off offset:640
	global_load_b128 v[56:59], v[2:3], off offset:640
	ds_load_2addr_b64 v[0:3], v246 offset0:110 offset1:191
	s_wait_loadcnt_dscnt 0x100
	v_mul_f32_e32 v10, v1, v81
	v_mul_f32_e32 v98, v0, v81
	s_wait_loadcnt 0x0
	v_mul_f32_e32 v100, v2, v57
	s_delay_alu instid0(VALU_DEP_3) | instskip(SKIP_1) | instid1(VALU_DEP_3)
	v_fma_f32 v95, v0, v80, -v10
	v_mul_f32_e32 v0, v3, v57
	v_fmac_f32_e32 v100, v3, v56
	v_fmac_f32_e32 v98, v1, v80
	s_delay_alu instid0(VALU_DEP_3)
	v_fma_f32 v99, v2, v56, -v0
	ds_load_2addr_b64 v[0:3], v254 offset0:152 offset1:233
	s_wait_dscnt 0x0
	v_mul_f32_e32 v10, v1, v83
	v_mul_f32_e32 v102, v0, v83
	;; [unrolled: 1-line block ×3, first 2 shown]
	s_delay_alu instid0(VALU_DEP_3) | instskip(SKIP_1) | instid1(VALU_DEP_4)
	v_fma_f32 v101, v0, v82, -v10
	v_mul_f32_e32 v0, v3, v59
	v_fmac_f32_e32 v102, v1, v82
	s_delay_alu instid0(VALU_DEP_4) | instskip(NEXT) | instid1(VALU_DEP_3)
	v_fmac_f32_e32 v110, v3, v58
	v_fma_f32 v103, v2, v58, -v0
	v_mul_u32_u24_e32 v0, 0x2d83, v19
	s_delay_alu instid0(VALU_DEP_1) | instskip(SKIP_1) | instid1(VALU_DEP_1)
	v_lshrrev_b32_e32 v111, 20, v0
	v_mul_u32_u24_e32 v0, 0x2d83, v32
	v_lshrrev_b32_e32 v112, 20, v0
	s_delay_alu instid0(VALU_DEP_3) | instskip(NEXT) | instid1(VALU_DEP_1)
	v_mul_lo_u16 v0, 0x5a, v111
	v_sub_nc_u16 v113, v129, v0
	s_delay_alu instid0(VALU_DEP_3) | instskip(NEXT) | instid1(VALU_DEP_1)
	v_mul_lo_u16 v0, 0x5a, v112
	v_sub_nc_u16 v114, v130, v0
	s_delay_alu instid0(VALU_DEP_3) | instskip(NEXT) | instid1(VALU_DEP_2)
	v_lshlrev_b16 v0, 4, v113
	v_lshlrev_b16 v1, 4, v114
	s_delay_alu instid0(VALU_DEP_2) | instskip(NEXT) | instid1(VALU_DEP_2)
	v_and_b32_e32 v0, 0xffff, v0
	v_and_b32_e32 v2, 0xffff, v1
	s_delay_alu instid0(VALU_DEP_2) | instskip(SKIP_2) | instid1(VALU_DEP_3)
	v_add_co_u32 v0, s2, s10, v0
	s_wait_alu 0xf1ff
	v_add_co_ci_u32_e64 v1, null, s11, 0, s2
	v_add_co_u32 v2, s2, s10, v2
	s_wait_alu 0xf1ff
	v_add_co_ci_u32_e64 v3, null, s11, 0, s2
	s_clause 0x1
	global_load_b128 v[72:75], v[0:1], off offset:640
	global_load_b128 v[52:55], v[2:3], off offset:640
	ds_load_2addr_b64 v[0:3], v247 offset0:16 offset1:97
	s_wait_loadcnt_dscnt 0x100
	v_mul_f32_e32 v10, v1, v73
	v_mul_f32_e32 v116, v0, v73
	s_wait_loadcnt 0x0
	v_mul_f32_e32 v118, v2, v53
	s_delay_alu instid0(VALU_DEP_3) | instskip(SKIP_2) | instid1(VALU_DEP_4)
	v_fma_f32 v115, v0, v72, -v10
	v_mul_f32_e32 v0, v3, v53
	v_fmac_f32_e32 v116, v1, v72
	v_fmac_f32_e32 v118, v3, v52
	s_delay_alu instid0(VALU_DEP_3)
	v_fma_f32 v117, v2, v52, -v0
	ds_load_2addr_b64 v[0:3], v119 offset0:58 offset1:139
	s_wait_dscnt 0x0
	v_mul_f32_e32 v10, v1, v75
	v_mul_f32_e32 v122, v2, v55
	;; [unrolled: 1-line block ×3, first 2 shown]
	s_delay_alu instid0(VALU_DEP_2)
	v_fmac_f32_e32 v122, v3, v54
	v_mov_b32_e32 v212, v119
	v_fma_f32 v119, v0, v74, -v10
	v_mul_f32_e32 v0, v3, v55
	v_fmac_f32_e32 v120, v1, v74
	v_mul_u32_u24_e32 v1, 0x2d83, v33
	s_delay_alu instid0(VALU_DEP_3) | instskip(SKIP_1) | instid1(VALU_DEP_3)
	v_fma_f32 v121, v2, v54, -v0
	v_mul_u32_u24_e32 v0, 0x2d83, v34
	v_lshrrev_b32_e32 v123, 20, v1
	s_delay_alu instid0(VALU_DEP_2) | instskip(NEXT) | instid1(VALU_DEP_2)
	v_lshrrev_b32_e32 v0, 20, v0
	v_mul_lo_u16 v1, 0x5a, v123
	s_delay_alu instid0(VALU_DEP_2) | instskip(NEXT) | instid1(VALU_DEP_2)
	v_mul_lo_u16 v0, 0x5a, v0
	v_sub_nc_u16 v124, v131, v1
	s_delay_alu instid0(VALU_DEP_2) | instskip(NEXT) | instid1(VALU_DEP_2)
	v_sub_nc_u16 v125, v108, v0
	v_lshlrev_b16 v0, 4, v124
	s_delay_alu instid0(VALU_DEP_2) | instskip(NEXT) | instid1(VALU_DEP_2)
	v_lshlrev_b16 v1, 4, v125
	v_and_b32_e32 v0, 0xffff, v0
	s_delay_alu instid0(VALU_DEP_2) | instskip(NEXT) | instid1(VALU_DEP_2)
	v_and_b32_e32 v2, 0xffff, v1
	v_add_co_u32 v0, s2, s10, v0
	s_wait_alu 0xf1ff
	v_add_co_ci_u32_e64 v1, null, s11, 0, s2
	s_delay_alu instid0(VALU_DEP_3)
	v_add_co_u32 v2, s2, s10, v2
	s_wait_alu 0xf1ff
	v_add_co_ci_u32_e64 v3, null, s11, 0, s2
	s_clause 0x1
	global_load_b128 v[64:67], v[0:1], off offset:640
	global_load_b128 v[48:51], v[2:3], off offset:640
	ds_load_2addr_b64 v[0:3], v255 offset0:50 offset1:131
	s_wait_loadcnt_dscnt 0x100
	v_mul_f32_e32 v127, v0, v65
	s_wait_loadcnt 0x0
	v_mul_f32_e32 v201, v2, v49
	s_delay_alu instid0(VALU_DEP_2) | instskip(NEXT) | instid1(VALU_DEP_2)
	v_fmac_f32_e32 v127, v1, v64
	v_dual_mul_f32 v10, v1, v65 :: v_dual_fmac_f32 v201, v3, v48
	s_delay_alu instid0(VALU_DEP_1) | instskip(SKIP_1) | instid1(VALU_DEP_1)
	v_fma_f32 v126, v0, v64, -v10
	v_mul_f32_e32 v0, v3, v49
	v_fma_f32 v200, v2, v48, -v0
	ds_load_2addr_b64 v[0:3], v232 offset0:92 offset1:173
	s_wait_dscnt 0x0
	v_mul_f32_e32 v10, v1, v67
	v_mul_f32_e32 v203, v0, v67
	;; [unrolled: 1-line block ×3, first 2 shown]
	s_delay_alu instid0(VALU_DEP_3) | instskip(NEXT) | instid1(VALU_DEP_3)
	v_fma_f32 v202, v0, v66, -v10
	v_dual_mul_f32 v0, v3, v51 :: v_dual_fmac_f32 v203, v1, v66
	s_delay_alu instid0(VALU_DEP_3) | instskip(NEXT) | instid1(VALU_DEP_2)
	v_fmac_f32_e32 v205, v3, v50
	v_fma_f32 v204, v2, v50, -v0
	ds_load_2addr_b64 v[0:3], v128 offset1:81
	s_wait_dscnt 0x0
	v_dual_add_f32 v14, v1, v7 :: v_dual_add_f32 v7, v7, v9
	v_add_f32_e32 v10, v0, v6
	s_delay_alu instid0(VALU_DEP_2) | instskip(SKIP_1) | instid1(VALU_DEP_4)
	v_add_f32_e32 v14, v14, v9
	v_add_f32_e32 v9, v6, v8
	v_fma_f32 v1, -0.5, v7, v1
	v_sub_f32_e32 v6, v6, v8
	v_add_f32_e32 v13, v10, v8
	s_delay_alu instid0(VALU_DEP_4)
	v_fma_f32 v0, -0.5, v9, v0
	ds_load_2addr_b64 v[7:10], v128 offset0:162 offset1:243
	ds_load_2addr_b64 v[20:23], v207 offset0:68 offset1:149
	ds_load_2addr_b64 v[24:27], v233 offset0:102 offset1:183
	ds_load_2addr_b64 v[28:31], v216 offset0:136 offset1:217
	v_fmamk_f32 v16, v6, 0xbf5db3d7, v1
	v_fmac_f32_e32 v1, 0x3f5db3d7, v6
	global_wb scope:SCOPE_SE
	s_wait_storecnt_dscnt 0x0
	v_fmamk_f32 v15, v206, 0x3f5db3d7, v0
	v_fmac_f32_e32 v0, 0xbf5db3d7, v206
	s_barrier_signal -1
	s_barrier_wait -1
	global_inv scope:SCOPE_SE
	ds_store_2addr_b64 v128, v[13:14], v[15:16] offset1:90
	ds_store_b64 v128, v[0:1] offset:1440
	s_wait_alu 0xfffd
	v_cndmask_b32_e64 v0, 0, 0x10e, vcc_lo
	v_add_f32_e32 v1, v2, v11
	v_sub_f32_e32 v13, v36, v38
	v_cmp_gt_u16_e32 vcc_lo, 27, v12
	s_delay_alu instid0(VALU_DEP_4) | instskip(SKIP_3) | instid1(VALU_DEP_3)
	v_add_lshl_u32 v14, v5, v0, 3
	v_add_f32_e32 v0, v11, v37
	v_add_f32_e32 v5, v3, v36
	v_sub_f32_e32 v11, v11, v37
	v_fma_f32 v2, -0.5, v0, v2
	v_add_f32_e32 v0, v1, v37
	s_delay_alu instid0(VALU_DEP_4) | instskip(SKIP_1) | instid1(VALU_DEP_1)
	v_add_f32_e32 v1, v5, v38
	v_add_f32_e32 v5, v36, v38
	v_fmac_f32_e32 v3, -0.5, v5
	v_fmamk_f32 v5, v13, 0x3f5db3d7, v2
	v_fmac_f32_e32 v2, 0xbf5db3d7, v13
	s_delay_alu instid0(VALU_DEP_3)
	v_dual_fmamk_f32 v6, v11, 0xbf5db3d7, v3 :: v_dual_lshlrev_b32 v13, 4, v17
	v_fmac_f32_e32 v3, 0x3f5db3d7, v11
	v_sub_f32_e32 v11, v44, v76
	ds_store_2addr_b64 v14, v[0:1], v[5:6] offset1:90
	ds_store_b64 v14, v[2:3] offset:1440
	v_dual_add_f32 v3, v44, v76 :: v_dual_add_f32 v2, v43, v47
	v_dual_add_f32 v0, v7, v43 :: v_dual_and_b32 v5, 0xffff, v40
	v_add_f32_e32 v1, v8, v44
	s_delay_alu instid0(VALU_DEP_3) | instskip(NEXT) | instid1(VALU_DEP_4)
	v_fma_f32 v3, -0.5, v3, v8
	v_fma_f32 v2, -0.5, v2, v7
	v_sub_f32_e32 v7, v43, v47
	v_mul_u32_u24_e32 v5, 0x10e, v5
	v_dual_add_f32 v0, v0, v47 :: v_dual_add_f32 v1, v1, v76
	v_mov_b32_e32 v40, v207
	s_delay_alu instid0(VALU_DEP_4) | instskip(NEXT) | instid1(VALU_DEP_4)
	v_fmamk_f32 v6, v7, 0xbf5db3d7, v3
	v_add_lshl_u32 v8, v5, v42, 3
	v_fmamk_f32 v5, v11, 0x3f5db3d7, v2
	v_fmac_f32_e32 v2, 0xbf5db3d7, v11
	v_fmac_f32_e32 v3, 0x3f5db3d7, v7
	ds_store_2addr_b64 v8, v[0:1], v[5:6] offset1:90
	v_add_f32_e32 v0, v45, v77
	ds_store_b64 v8, v[2:3] offset:1440
	v_dual_add_f32 v1, v9, v45 :: v_dual_add_f32 v2, v10, v46
	v_sub_f32_e32 v5, v46, v78
	v_fma_f32 v9, -0.5, v0, v9
	v_sub_f32_e32 v6, v45, v77
	s_delay_alu instid0(VALU_DEP_4) | instskip(SKIP_1) | instid1(VALU_DEP_1)
	v_dual_add_f32 v0, v1, v77 :: v_dual_add_f32 v1, v2, v78
	v_mad_u16 v2, 0x10e, v39, v41
	v_and_b32_e32 v7, 0xffff, v2
	v_fmamk_f32 v2, v5, 0x3f5db3d7, v9
	v_fmac_f32_e32 v9, 0xbf5db3d7, v5
	v_add_f32_e32 v3, v46, v78
	v_mad_u16 v5, 0x10e, v79, v93
	v_lshlrev_b32_e32 v7, 3, v7
	scratch_store_b32 off, v8, off offset:332 ; 4-byte Folded Spill
	v_sub_f32_e32 v8, v95, v101
	v_fmac_f32_e32 v10, -0.5, v3
	scratch_store_b32 off, v7, off offset:328 ; 4-byte Folded Spill
	v_fmamk_f32 v3, v6, 0xbf5db3d7, v10
	v_fmac_f32_e32 v10, 0x3f5db3d7, v6
	ds_store_2addr_b64 v7, v[0:1], v[2:3] offset1:90
	v_dual_add_f32 v3, v98, v102 :: v_dual_add_f32 v2, v95, v101
	ds_store_b64 v7, v[9:10] offset:1440
	v_sub_f32_e32 v7, v98, v102
	v_and_b32_e32 v9, 0xffff, v5
	v_fma_f32 v3, -0.5, v3, v21
	v_fma_f32 v2, -0.5, v2, v20
	v_dual_add_f32 v0, v20, v95 :: v_dual_add_f32 v1, v21, v98
	s_delay_alu instid0(VALU_DEP_3) | instskip(NEXT) | instid1(VALU_DEP_3)
	v_dual_fmamk_f32 v6, v8, 0xbf5db3d7, v3 :: v_dual_lshlrev_b32 v9, 3, v9
	v_fmamk_f32 v5, v7, 0x3f5db3d7, v2
	v_fmac_f32_e32 v2, 0xbf5db3d7, v7
	s_delay_alu instid0(VALU_DEP_4)
	v_dual_fmac_f32 v3, 0x3f5db3d7, v8 :: v_dual_add_f32 v0, v0, v101
	v_dual_add_f32 v1, v1, v102 :: v_dual_sub_f32 v8, v115, v119
	v_lshlrev_b32_e32 v98, 4, v4
	ds_store_b64 v9, v[2:3] offset:1440
	v_add_f32_e32 v3, v100, v110
	ds_store_2addr_b64 v9, v[0:1], v[5:6] offset1:90
	v_add_f32_e32 v0, v99, v103
	v_dual_add_f32 v1, v22, v99 :: v_dual_add_f32 v2, v23, v100
	v_fmac_f32_e32 v23, -0.5, v3
	v_sub_f32_e32 v6, v99, v103
	s_delay_alu instid0(VALU_DEP_4) | instskip(NEXT) | instid1(VALU_DEP_4)
	v_fma_f32 v22, -0.5, v0, v22
	v_dual_add_f32 v0, v1, v103 :: v_dual_add_f32 v1, v2, v110
	v_mad_u16 v2, 0x10e, v92, v94
	s_delay_alu instid0(VALU_DEP_4) | instskip(SKIP_2) | instid1(VALU_DEP_4)
	v_fmamk_f32 v3, v6, 0xbf5db3d7, v23
	v_sub_f32_e32 v5, v100, v110
	v_fmac_f32_e32 v23, 0x3f5db3d7, v6
	v_and_b32_e32 v7, 0xffff, v2
	s_delay_alu instid0(VALU_DEP_3) | instskip(SKIP_2) | instid1(VALU_DEP_4)
	v_fmamk_f32 v2, v5, 0x3f5db3d7, v22
	v_fmac_f32_e32 v22, 0xbf5db3d7, v5
	v_mad_u16 v5, 0x10e, v111, v113
	v_lshlrev_b32_e32 v7, 3, v7
	scratch_store_b32 off, v9, off offset:324 ; 4-byte Folded Spill
	v_and_b32_e32 v9, 0xffff, v5
	scratch_store_b32 off, v7, off offset:320 ; 4-byte Folded Spill
	ds_store_2addr_b64 v7, v[0:1], v[2:3] offset1:90
	v_add_f32_e32 v2, v115, v119
	ds_store_b64 v7, v[22:23] offset:1440
	v_lshlrev_b32_e32 v9, 3, v9
	v_add_f32_e32 v3, v116, v120
	v_dual_add_f32 v0, v24, v115 :: v_dual_add_f32 v1, v25, v116
	v_sub_f32_e32 v7, v116, v120
	v_fma_f32 v2, -0.5, v2, v24
	s_delay_alu instid0(VALU_DEP_4) | instskip(NEXT) | instid1(VALU_DEP_4)
	v_fma_f32 v3, -0.5, v3, v25
	v_dual_add_f32 v0, v0, v119 :: v_dual_add_f32 v1, v1, v120
	s_delay_alu instid0(VALU_DEP_3) | instskip(NEXT) | instid1(VALU_DEP_3)
	v_fmamk_f32 v5, v7, 0x3f5db3d7, v2
	v_fmamk_f32 v6, v8, 0xbf5db3d7, v3
	v_fmac_f32_e32 v2, 0xbf5db3d7, v7
	v_dual_fmac_f32 v3, 0x3f5db3d7, v8 :: v_dual_sub_f32 v8, v126, v202
	ds_store_2addr_b64 v9, v[0:1], v[5:6] offset1:90
	v_add_f32_e32 v0, v117, v121
	ds_store_b64 v9, v[2:3] offset:1440
	v_dual_add_f32 v1, v26, v117 :: v_dual_add_f32 v2, v27, v118
	v_sub_f32_e32 v6, v117, v121
	v_fma_f32 v26, -0.5, v0, v26
	s_delay_alu instid0(VALU_DEP_3) | instskip(SKIP_1) | instid1(VALU_DEP_1)
	v_dual_add_f32 v0, v1, v121 :: v_dual_add_f32 v1, v2, v122
	v_mad_u16 v2, 0x10e, v112, v114
	v_and_b32_e32 v7, 0xffff, v2
	v_add_f32_e32 v3, v118, v122
	v_sub_f32_e32 v5, v118, v122
	v_mov_b32_e32 v47, v212
	s_delay_alu instid0(VALU_DEP_4) | instskip(NEXT) | instid1(VALU_DEP_3)
	v_lshlrev_b32_e32 v7, 3, v7
	v_dual_fmac_f32 v27, -0.5, v3 :: v_dual_fmamk_f32 v2, v5, 0x3f5db3d7, v26
	v_fmac_f32_e32 v26, 0xbf5db3d7, v5
	v_mad_u16 v5, 0x10e, v123, v124
	s_clause 0x1
	scratch_store_b32 off, v9, off offset:316
	scratch_store_b32 off, v7, off offset:312
	v_fmamk_f32 v3, v6, 0xbf5db3d7, v27
	v_fmac_f32_e32 v27, 0x3f5db3d7, v6
	v_and_b32_e32 v9, 0xffff, v5
	ds_store_2addr_b64 v7, v[0:1], v[2:3] offset1:90
	v_dual_add_f32 v3, v127, v203 :: v_dual_add_f32 v2, v126, v202
	ds_store_b64 v7, v[26:27] offset:1440
	v_dual_add_f32 v0, v28, v126 :: v_dual_add_f32 v1, v29, v127
	v_sub_f32_e32 v7, v127, v203
	v_fma_f32 v2, -0.5, v2, v28
	v_fma_f32 v3, -0.5, v3, v29
	s_delay_alu instid0(VALU_DEP_4) | instskip(SKIP_1) | instid1(VALU_DEP_4)
	v_dual_add_f32 v0, v0, v202 :: v_dual_add_f32 v1, v1, v203
	v_lshlrev_b32_e32 v9, 3, v9
	v_fmamk_f32 v5, v7, 0x3f5db3d7, v2
	s_delay_alu instid0(VALU_DEP_4)
	v_fmamk_f32 v6, v8, 0xbf5db3d7, v3
	v_fmac_f32_e32 v2, 0xbf5db3d7, v7
	v_fmac_f32_e32 v3, 0x3f5db3d7, v8
	ds_store_2addr_b64 v9, v[0:1], v[5:6] offset1:90
	v_add_f32_e32 v0, v200, v204
	ds_store_b64 v9, v[2:3] offset:1440
	v_dual_add_f32 v1, v30, v200 :: v_dual_add_f32 v2, v31, v201
	v_sub_f32_e32 v5, v201, v205
	v_fma_f32 v30, -0.5, v0, v30
	v_sub_f32_e32 v6, v200, v204
	s_delay_alu instid0(VALU_DEP_4) | instskip(SKIP_1) | instid1(VALU_DEP_1)
	v_dual_add_f32 v0, v1, v204 :: v_dual_add_f32 v1, v2, v205
	v_add_f32_e32 v2, v201, v205
	v_dual_fmac_f32 v31, -0.5, v2 :: v_dual_and_b32 v2, 0xffff, v125
	s_delay_alu instid0(VALU_DEP_1) | instskip(NEXT) | instid1(VALU_DEP_2)
	v_fmamk_f32 v3, v6, 0xbf5db3d7, v31
	v_dual_fmamk_f32 v2, v5, 0x3f5db3d7, v30 :: v_dual_lshlrev_b32 v7, 3, v2
	v_fmac_f32_e32 v30, 0xbf5db3d7, v5
	v_fmac_f32_e32 v31, 0x3f5db3d7, v6
	s_delay_alu instid0(VALU_DEP_3)
	v_add_nc_u32_e32 v8, 0x4000, v7
	s_clause 0x2
	scratch_store_b32 off, v7, off offset:300
	scratch_store_b32 off, v14, off offset:336
	;; [unrolled: 1-line block ×3, first 2 shown]
	ds_store_b64 v7, v[30:31] offset:18720
	scratch_store_b32 off, v8, off offset:304 ; 4-byte Folded Spill
	ds_store_2addr_b64 v8, v[0:1], v[2:3] offset0:112 offset1:202
	global_wb scope:SCOPE_SE
	s_wait_storecnt_dscnt 0x0
	s_barrier_signal -1
	s_barrier_wait -1
	global_inv scope:SCOPE_SE
	s_clause 0x1
	global_load_b128 v[5:8], v97, s[10:11] offset:2080
	global_load_b128 v[228:231], v97, s[10:11] offset:2944
	ds_load_2addr_b64 v[0:3], v245 offset0:42 offset1:123
	s_wait_loadcnt 0x1
	v_mov_b32_e32 v9, v8
	v_mov_b32_e32 v8, v7
	;; [unrolled: 1-line block ×4, first 2 shown]
	s_wait_dscnt 0x0
	s_delay_alu instid0(VALU_DEP_2)
	v_mul_f32_e32 v5, v1, v7
	scratch_store_b128 off, v[6:9], off offset:388 ; 16-byte Folded Spill
	s_clause 0x1
	global_load_b128 v[249:252], v13, s[10:11] offset:2080
	global_load_b128 v[41:44], v97, s[10:11] offset:4240
	v_mul_f32_e32 v11, v0, v7
	v_fma_f32 v10, v0, v6, -v5
	s_delay_alu instid0(VALU_DEP_2) | instskip(SKIP_3) | instid1(VALU_DEP_2)
	v_fmac_f32_e32 v11, v1, v6
	s_wait_loadcnt 0x1
	v_mul_f32_e32 v0, v3, v250
	v_mul_f32_e32 v24, v2, v250
	v_fma_f32 v23, v2, v249, -v0
	s_delay_alu instid0(VALU_DEP_2) | instskip(SKIP_4) | instid1(VALU_DEP_2)
	v_fmac_f32_e32 v24, v3, v249
	ds_load_2addr_b64 v[0:3], v248 offset0:84 offset1:165
	s_wait_dscnt 0x0
	v_mul_f32_e32 v5, v1, v9
	v_dual_mul_f32 v15, v0, v9 :: v_dual_mul_f32 v26, v2, v252
	v_fma_f32 v14, v0, v8, -v5
	v_mul_f32_e32 v0, v3, v252
	s_delay_alu instid0(VALU_DEP_3) | instskip(NEXT) | instid1(VALU_DEP_2)
	v_dual_fmac_f32 v15, v1, v8 :: v_dual_fmac_f32 v26, v3, v251
	v_fma_f32 v25, v2, v251, -v0
	v_add_co_u32 v0, s2, 0xffffffe5, v208
	s_wait_alu 0xf1ff
	v_add_co_ci_u32_e64 v1, null, 0, -1, s2
	s_wait_alu 0xfffd
	s_delay_alu instid0(VALU_DEP_2) | instskip(NEXT) | instid1(VALU_DEP_2)
	v_dual_sub_f32 v16, v11, v15 :: v_dual_cndmask_b32 v5, v0, v96
	v_cndmask_b32_e32 v6, v1, v35, vcc_lo
	s_delay_alu instid0(VALU_DEP_1) | instskip(NEXT) | instid1(VALU_DEP_1)
	v_lshlrev_b64_e32 v[0:1], 4, v[5:6]
	v_add_co_u32 v6, vcc_lo, s10, v0
	s_wait_alu 0xfffd
	s_delay_alu instid0(VALU_DEP_2) | instskip(SKIP_4) | instid1(VALU_DEP_1)
	v_add_co_ci_u32_e32 v7, vcc_lo, s11, v1, vcc_lo
	ds_load_2addr_b64 v[0:3], v128 offset1:81
	v_cmp_lt_u16_e32 vcc_lo, 26, v12
	s_wait_dscnt 0x0
	v_dual_add_f32 v8, v0, v10 :: v_dual_add_f32 v9, v1, v11
	v_dual_add_f32 v11, v11, v15 :: v_dual_add_f32 v8, v8, v14
	s_delay_alu instid0(VALU_DEP_2) | instskip(SKIP_1) | instid1(VALU_DEP_3)
	v_add_f32_e32 v9, v9, v15
	v_add_f32_e32 v15, v10, v14
	v_fma_f32 v1, -0.5, v11, v1
	v_sub_f32_e32 v14, v10, v14
	s_delay_alu instid0(VALU_DEP_3) | instskip(SKIP_1) | instid1(VALU_DEP_3)
	v_fma_f32 v0, -0.5, v15, v0
	v_mul_u32_u24_e32 v15, 0x795d, v19
	v_fmamk_f32 v11, v14, 0xbf5db3d7, v1
	v_fmac_f32_e32 v1, 0x3f5db3d7, v14
	v_mul_u32_u24_e32 v14, 0x795d, v32
	v_fmamk_f32 v10, v16, 0x3f5db3d7, v0
	v_lshrrev_b32_e32 v27, 23, v15
	v_fmac_f32_e32 v0, 0xbf5db3d7, v16
	v_mul_u32_u24_e32 v16, 0x795d, v34
	v_lshrrev_b32_e32 v14, 23, v14
	s_delay_alu instid0(VALU_DEP_4) | instskip(NEXT) | instid1(VALU_DEP_3)
	v_mul_lo_u16 v15, 0x10e, v27
	v_lshrrev_b32_e32 v16, 23, v16
	s_delay_alu instid0(VALU_DEP_3) | instskip(NEXT) | instid1(VALU_DEP_3)
	v_mul_lo_u16 v14, 0x10e, v14
	v_sub_nc_u16 v28, v129, v15
	s_delay_alu instid0(VALU_DEP_2) | instskip(SKIP_1) | instid1(VALU_DEP_3)
	v_sub_nc_u16 v29, v130, v14
	v_mul_u32_u24_e32 v14, 0x795d, v33
	v_lshlrev_b16 v15, 4, v28
	s_delay_alu instid0(VALU_DEP_3) | instskip(NEXT) | instid1(VALU_DEP_3)
	v_lshlrev_b16 v17, 4, v29
	v_lshrrev_b32_e32 v14, 23, v14
	s_delay_alu instid0(VALU_DEP_3) | instskip(NEXT) | instid1(VALU_DEP_3)
	v_and_b32_e32 v15, 0xffff, v15
	v_and_b32_e32 v17, 0xffff, v17
	s_delay_alu instid0(VALU_DEP_3) | instskip(NEXT) | instid1(VALU_DEP_3)
	v_mul_lo_u16 v19, 0x10e, v14
	v_add_co_u32 v14, s2, s10, v15
	s_wait_alu 0xf1ff
	v_add_co_ci_u32_e64 v15, null, s11, 0, s2
	s_delay_alu instid0(VALU_DEP_3) | instskip(SKIP_4) | instid1(VALU_DEP_3)
	v_sub_nc_u16 v30, v131, v19
	v_mul_lo_u16 v19, 0x10e, v16
	v_add_co_u32 v16, s2, s10, v17
	s_wait_alu 0xf1ff
	v_add_co_ci_u32_e64 v17, null, s11, 0, s2
	v_sub_nc_u16 v31, v108, v19
	v_lshlrev_b16 v19, 4, v30
	s_delay_alu instid0(VALU_DEP_2) | instskip(NEXT) | instid1(VALU_DEP_2)
	v_lshlrev_b16 v20, 4, v31
	v_and_b32_e32 v19, 0xffff, v19
	s_delay_alu instid0(VALU_DEP_2) | instskip(NEXT) | instid1(VALU_DEP_2)
	v_and_b32_e32 v21, 0xffff, v20
	v_add_co_u32 v19, s2, s10, v19
	s_wait_alu 0xf1ff
	v_add_co_ci_u32_e64 v20, null, s11, 0, s2
	s_delay_alu instid0(VALU_DEP_3)
	v_add_co_u32 v21, s2, s10, v21
	s_wait_alu 0xf1ff
	v_add_co_ci_u32_e64 v22, null, s11, 0, s2
	s_clause 0x5
	global_load_b128 v[32:35], v[14:15], off offset:2080
	global_load_b128 v[36:39], v[16:17], off offset:2080
	;; [unrolled: 1-line block ×5, first 2 shown]
	global_load_b128 v[92:95], v98, s[10:11] offset:2080
	ds_load_2addr_b64 v[99:102], v128 offset0:162 offset1:243
	ds_load_2addr_b64 v[110:113], v253 offset0:76 offset1:157
	;; [unrolled: 1-line block ×9, first 2 shown]
	v_mov_b32_e32 v14, v216
	ds_load_2addr_b64 v[216:219], v216 offset0:136 offset1:217
	ds_load_2addr_b64 v[220:223], v255 offset0:50 offset1:131
	;; [unrolled: 1-line block ×3, first 2 shown]
	global_wb scope:SCOPE_SE
	s_wait_storecnt 0x0
	s_wait_loadcnt_dscnt 0x0
	s_barrier_signal -1
	s_barrier_wait -1
	global_inv scope:SCOPE_SE
	ds_store_b64 v128, v[10:11] offset:2160
	ds_store_b64 v128, v[0:1] offset:4320
	v_add_f32_e32 v1, v3, v24
	s_clause 0x1
	scratch_store_b128 off, v[228:231], off offset:452
	scratch_store_b128 off, v[41:44], off offset:420
	v_mov_b32_e32 v45, v14
	s_add_nc_u64 s[2:3], s[8:9], 0x4bf0
	v_add_f32_e32 v1, v1, v26
	v_mul_f32_e32 v11, v125, v42
	v_mul_f32_e32 v19, v202, v44
	;; [unrolled: 1-line block ×3, first 2 shown]
	v_dual_mul_f32 v16, v200, v231 :: v_dual_mul_f32 v17, v203, v44
	s_delay_alu instid0(VALU_DEP_4) | instskip(NEXT) | instid1(VALU_DEP_4)
	v_fma_f32 v11, v124, v41, -v11
	v_fmac_f32_e32 v19, v203, v43
	s_delay_alu instid0(VALU_DEP_4) | instskip(NEXT) | instid1(VALU_DEP_4)
	v_fma_f32 v15, v200, v230, -v15
	v_fmac_f32_e32 v16, v201, v230
	v_fma_f32 v17, v202, v43, -v17
	v_mul_f32_e32 v21, v208, v33
	v_mul_f32_e32 v20, v209, v33
	;; [unrolled: 1-line block ×3, first 2 shown]
	s_delay_alu instid0(VALU_DEP_3) | instskip(SKIP_1) | instid1(VALU_DEP_4)
	v_dual_mul_f32 v12, v226, v243 :: v_dual_fmac_f32 v21, v209, v32
	v_add_f32_e32 v0, v2, v23
	v_fma_f32 v20, v208, v32, -v20
	v_mul_f32_e32 v6, v110, v93
	v_mul_f32_e32 v7, v114, v95
	v_fma_f32 v22, v210, v36, -v22
	v_add_f32_e32 v0, v0, v25
	v_fmac_f32_e32 v12, v227, v242
	v_fmac_f32_e32 v6, v111, v92
	;; [unrolled: 1-line block ×3, first 2 shown]
	ds_store_2addr_b64 v128, v[8:9], v[0:1] offset1:81
	v_dual_mul_f32 v0, v111, v93 :: v_dual_add_f32 v1, v100, v6
	v_dual_add_f32 v9, v24, v26 :: v_dual_sub_f32 v10, v6, v7
	s_delay_alu instid0(VALU_DEP_2) | instskip(SKIP_1) | instid1(VALU_DEP_4)
	v_fma_f32 v4, v110, v92, -v0
	v_mul_f32_e32 v0, v115, v95
	v_add_f32_e32 v1, v1, v7
	s_delay_alu instid0(VALU_DEP_4) | instskip(SKIP_1) | instid1(VALU_DEP_4)
	v_fmac_f32_e32 v3, -0.5, v9
	v_sub_f32_e32 v9, v23, v25
	v_fma_f32 v8, v114, v94, -v0
	v_add_f32_e32 v0, v99, v4
	s_delay_alu instid0(VALU_DEP_1)
	v_add_f32_e32 v0, v0, v8
	ds_store_b64 v128, v[0:1] offset:1296
	v_dual_add_f32 v0, v23, v25 :: v_dual_sub_f32 v1, v24, v26
	v_mul_f32_e32 v26, v215, v39
	v_mul_f32_e32 v24, v213, v35
	;; [unrolled: 1-line block ×3, first 2 shown]
	s_delay_alu instid0(VALU_DEP_4)
	v_fma_f32 v2, -0.5, v0, v2
	v_mul_f32_e32 v23, v210, v37
	v_fma_f32 v26, v214, v38, -v26
	v_fma_f32 v24, v212, v34, -v24
	v_fmac_f32_e32 v25, v213, v34
	v_fmamk_f32 v0, v1, 0x3f5db3d7, v2
	v_dual_fmac_f32 v2, 0xbf5db3d7, v1 :: v_dual_add_f32 v1, v6, v7
	v_add_f32_e32 v6, v4, v8
	v_sub_f32_e32 v4, v4, v8
	v_fmac_f32_e32 v23, v211, v36
	s_delay_alu instid0(VALU_DEP_4) | instskip(NEXT) | instid1(VALU_DEP_4)
	v_fma_f32 v7, -0.5, v1, v100
	v_fma_f32 v6, -0.5, v6, v99
	v_fmamk_f32 v1, v9, 0xbf5db3d7, v3
	v_fmac_f32_e32 v3, 0x3f5db3d7, v9
	v_mul_f32_e32 v99, v222, v241
	v_fmamk_f32 v9, v4, 0xbf5db3d7, v7
	v_fmamk_f32 v8, v10, 0x3f5db3d7, v6
	v_fmac_f32_e32 v6, 0xbf5db3d7, v10
	v_fmac_f32_e32 v7, 0x3f5db3d7, v4
	v_dual_fmac_f32 v99, v223, v240 :: v_dual_mul_f32 v10, v122, v229
	ds_store_2addr_b64 v40, v[0:1], v[8:9] offset0:95 offset1:176
	s_wait_alu 0xfffd
	v_cndmask_b32_e64 v0, 0, 0x32a, vcc_lo
	ds_store_2addr_b64 v14, v[2:3], v[6:7] offset0:109 offset1:190
	v_mul_f32_e32 v3, v112, v77
	v_dual_mul_f32 v6, v116, v79 :: v_dual_mul_f32 v7, v123, v229
	v_add_lshl_u32 v9, v5, v0, 3
	scratch_store_b128 off, v[32:35], off offset:404 ; 16-byte Folded Spill
	v_dual_mul_f32 v34, v220, v237 :: v_dual_fmac_f32 v3, v113, v76
	v_fmac_f32_e32 v6, v117, v78
	v_fma_f32 v7, v122, v228, -v7
	v_fmac_f32_e32 v10, v123, v228
	s_delay_alu instid0(VALU_DEP_4)
	v_fmac_f32_e32 v34, v221, v236
	v_mul_f32_e32 v2, v113, v77
	v_mul_f32_e32 v4, v117, v79
	v_dual_add_f32 v1, v102, v3 :: v_dual_sub_f32 v8, v3, v6
	scratch_store_b32 off, v9, off offset:292 ; 4-byte Folded Spill
	v_fma_f32 v2, v112, v76, -v2
	v_fma_f32 v4, v116, v78, -v4
	v_add_f32_e32 v1, v1, v6
	v_mul_f32_e32 v14, v124, v42
	s_delay_alu instid0(VALU_DEP_4) | instskip(NEXT) | instid1(VALU_DEP_4)
	v_dual_mul_f32 v32, v214, v39 :: v_dual_add_f32 v5, v101, v2
	v_dual_add_f32 v0, v2, v4 :: v_dual_mul_f32 v33, v221, v237
	s_delay_alu instid0(VALU_DEP_3) | instskip(NEXT) | instid1(VALU_DEP_3)
	v_fmac_f32_e32 v14, v125, v41
	v_fmac_f32_e32 v32, v215, v38
	v_mul_f32_e32 v35, v223, v241
	s_delay_alu instid0(VALU_DEP_4) | instskip(SKIP_4) | instid1(VALU_DEP_4)
	v_fma_f32 v101, -0.5, v0, v101
	v_add_f32_e32 v0, v3, v6
	v_add_f32_e32 v6, v120, v11
	v_fma_f32 v33, v220, v236, -v33
	v_fma_f32 v35, v222, v240, -v35
	v_fmac_f32_e32 v102, -0.5, v0
	v_add_f32_e32 v0, v5, v4
	v_sub_f32_e32 v4, v2, v4
	v_fmamk_f32 v2, v8, 0x3f5db3d7, v101
	v_fmac_f32_e32 v101, 0xbf5db3d7, v8
	v_sub_f32_e32 v5, v14, v19
	ds_store_b64 v9, v[0:1]
	v_dual_add_f32 v0, v7, v15 :: v_dual_fmamk_f32 v3, v4, 0xbf5db3d7, v102
	v_fmac_f32_e32 v102, 0x3f5db3d7, v4
	v_sub_f32_e32 v1, v10, v16
	ds_store_b64 v9, v[101:102] offset:4320
	ds_store_b64 v9, v[2:3] offset:2160
	v_fma_f32 v0, -0.5, v0, v118
	v_sub_f32_e32 v4, v7, v15
	v_dual_add_f32 v8, v121, v14 :: v_dual_sub_f32 v9, v11, v17
	v_add_f32_e32 v6, v6, v17
	s_delay_alu instid0(VALU_DEP_4) | instskip(SKIP_1) | instid1(VALU_DEP_1)
	v_fmamk_f32 v2, v1, 0x3f5db3d7, v0
	v_dual_fmac_f32 v0, 0xbf5db3d7, v1 :: v_dual_add_f32 v1, v10, v16
	v_fma_f32 v1, -0.5, v1, v119
	s_delay_alu instid0(VALU_DEP_1) | instskip(SKIP_1) | instid1(VALU_DEP_1)
	v_fmamk_f32 v3, v4, 0xbf5db3d7, v1
	v_dual_fmac_f32 v1, 0x3f5db3d7, v4 :: v_dual_add_f32 v4, v11, v17
	v_fma_f32 v120, -0.5, v4, v120
	s_delay_alu instid0(VALU_DEP_1) | instskip(SKIP_1) | instid1(VALU_DEP_1)
	v_fmamk_f32 v4, v5, 0x3f5db3d7, v120
	v_dual_fmac_f32 v120, 0xbf5db3d7, v5 :: v_dual_add_f32 v5, v14, v19
	v_fmac_f32_e32 v121, -0.5, v5
	s_delay_alu instid0(VALU_DEP_1)
	v_fmamk_f32 v5, v9, 0xbf5db3d7, v121
	v_fmac_f32_e32 v121, 0x3f5db3d7, v9
	ds_store_2addr_b64 v247, v[0:1], v[120:121] offset0:124 offset1:205
	v_add_f32_e32 v0, v118, v7
	v_mul_f32_e32 v7, v225, v239
	v_dual_add_f32 v1, v119, v10 :: v_dual_mul_f32 v10, v224, v239
	s_delay_alu instid0(VALU_DEP_3) | instskip(NEXT) | instid1(VALU_DEP_3)
	v_add_f32_e32 v0, v0, v15
	v_fma_f32 v9, v224, v238, -v7
	v_mul_f32_e32 v7, v227, v243
	s_delay_alu instid0(VALU_DEP_4) | instskip(SKIP_1) | instid1(VALU_DEP_3)
	v_add_f32_e32 v1, v1, v16
	v_fmac_f32_e32 v10, v225, v238
	v_fma_f32 v11, v226, v242, -v7
	v_add_f32_e32 v7, v8, v19
	ds_store_2addr_b64 v245, v[0:1], v[6:7] offset0:96 offset1:177
	ds_store_2addr_b64 v246, v[2:3], v[4:5] offset0:110 offset1:191
	v_mad_u16 v4, 0x32a, v27, v28
	v_dual_add_f32 v0, v204, v20 :: v_dual_add_f32 v1, v205, v21
	v_dual_add_f32 v3, v21, v25 :: v_dual_add_f32 v2, v20, v24
	s_delay_alu instid0(VALU_DEP_3) | instskip(NEXT) | instid1(VALU_DEP_3)
	v_and_b32_e32 v4, 0xffff, v4
	v_dual_add_f32 v0, v0, v24 :: v_dual_add_f32 v1, v1, v25
	v_sub_f32_e32 v6, v21, v25
	s_delay_alu instid0(VALU_DEP_4) | instskip(SKIP_3) | instid1(VALU_DEP_4)
	v_fma_f32 v2, -0.5, v2, v204
	v_fma_f32 v3, -0.5, v3, v205
	v_sub_f32_e32 v7, v20, v24
	v_lshlrev_b32_e32 v8, 3, v4
	v_fmamk_f32 v4, v6, 0x3f5db3d7, v2
	s_delay_alu instid0(VALU_DEP_3)
	v_dual_fmac_f32 v2, 0xbf5db3d7, v6 :: v_dual_fmamk_f32 v5, v7, 0xbf5db3d7, v3
	ds_store_b64 v8, v[0:1]
	v_dual_add_f32 v0, v22, v26 :: v_dual_fmac_f32 v3, 0x3f5db3d7, v7
	scratch_store_b32 off, v8, off offset:296 ; 4-byte Folded Spill
	ds_store_b64 v8, v[4:5] offset:2160
	ds_store_b64 v8, v[2:3] offset:4320
	v_add_f32_e32 v2, v206, v22
	v_fma_f32 v206, -0.5, v0, v206
	v_add_f32_e32 v0, v23, v32
	v_add_f32_e32 v1, v207, v23
	v_dual_sub_f32 v4, v23, v32 :: v_dual_sub_f32 v5, v22, v26
	s_delay_alu instid0(VALU_DEP_3) | instskip(NEXT) | instid1(VALU_DEP_3)
	v_dual_fmac_f32 v207, -0.5, v0 :: v_dual_add_f32 v0, v2, v26
	v_dual_add_f32 v1, v1, v32 :: v_dual_and_b32 v2, 0xffff, v29
	v_mov_b32_e32 v32, v233
	s_delay_alu instid0(VALU_DEP_3) | instskip(NEXT) | instid1(VALU_DEP_3)
	v_fmamk_f32 v3, v5, 0xbf5db3d7, v207
	v_dual_fmac_f32 v207, 0x3f5db3d7, v5 :: v_dual_lshlrev_b32 v6, 3, v2
	v_fmamk_f32 v2, v4, 0x3f5db3d7, v206
	v_fmac_f32_e32 v206, 0xbf5db3d7, v4
	v_dual_add_f32 v5, v219, v99 :: v_dual_and_b32 v4, 0xffff, v30
	ds_store_b64 v6, v[0:1] offset:12960
	v_dual_add_f32 v0, v216, v33 :: v_dual_add_f32 v1, v217, v34
	v_lshlrev_b32_e32 v4, 3, v4
	scratch_store_b32 off, v6, off offset:344 ; 4-byte Folded Spill
	v_dual_add_f32 v5, v5, v12 :: v_dual_add_f32 v0, v0, v9
	v_add_f32_e32 v1, v1, v10
	ds_store_b64 v6, v[206:207] offset:17280
	ds_store_b64 v4, v[0:1] offset:12960
	v_dual_add_f32 v1, v34, v10 :: v_dual_add_f32 v0, v33, v9
	v_mov_b32_e32 v8, v4
	ds_store_b64 v6, v[2:3] offset:15120
	v_sub_f32_e32 v3, v34, v10
	v_fma_f32 v1, -0.5, v1, v217
	v_fma_f32 v0, -0.5, v0, v216
	v_sub_f32_e32 v4, v33, v9
	v_dual_mov_b32 v31, v232 :: v_dual_and_b32 v6, 0xffff, v31
	s_delay_alu instid0(VALU_DEP_3) | instskip(NEXT) | instid1(VALU_DEP_3)
	v_fmamk_f32 v2, v3, 0x3f5db3d7, v0
	v_dual_fmac_f32 v0, 0xbf5db3d7, v3 :: v_dual_fmamk_f32 v3, v4, 0xbf5db3d7, v1
	v_dual_fmac_f32 v1, 0x3f5db3d7, v4 :: v_dual_add_f32 v4, v218, v35
	s_delay_alu instid0(VALU_DEP_4)
	v_dual_sub_f32 v6, v35, v11 :: v_dual_lshlrev_b32 v7, 3, v6
	scratch_store_b32 off, v8, off offset:364 ; 4-byte Folded Spill
	ds_store_b64 v8, v[0:1] offset:17280
	v_add_f32_e32 v0, v35, v11
	v_dual_sub_f32 v1, v99, v12 :: v_dual_add_f32 v4, v4, v11
	scratch_store_b32 off, v7, off offset:340 ; 4-byte Folded Spill
	v_fma_f32 v218, -0.5, v0, v218
	v_add_f32_e32 v0, v99, v12
	s_delay_alu instid0(VALU_DEP_1) | instskip(NEXT) | instid1(VALU_DEP_1)
	v_dual_fmac_f32 v219, -0.5, v0 :: v_dual_fmamk_f32 v0, v1, 0x3f5db3d7, v218
	v_dual_fmac_f32 v218, 0xbf5db3d7, v1 :: v_dual_fmamk_f32 v1, v6, 0xbf5db3d7, v219
	v_fmac_f32_e32 v219, 0x3f5db3d7, v6
	ds_store_b64 v7, v[218:219] offset:17280
	ds_store_b64 v8, v[2:3] offset:15120
	;; [unrolled: 1-line block ×4, first 2 shown]
	global_wb scope:SCOPE_SE
	s_wait_storecnt_dscnt 0x0
	s_barrier_signal -1
	s_barrier_wait -1
	global_inv scope:SCOPE_SE
	s_clause 0x1
	global_load_b128 v[19:22], v97, s[10:11] offset:6400
	global_load_b128 v[12:15], v13, s[10:11] offset:6400
	ds_load_2addr_b64 v[0:3], v245 offset0:42 offset1:123
	s_wait_loadcnt_dscnt 0x100
	v_mul_f32_e32 v4, v1, v20
	v_mul_f32_e32 v7, v0, v20
	s_wait_loadcnt 0x0
	v_mul_f32_e32 v9, v2, v13
	s_clause 0x1
	scratch_store_b128 off, v[19:22], off offset:368
	scratch_store_b128 off, v[12:15], off offset:348
	v_fma_f32 v6, v0, v19, -v4
	v_dual_mul_f32 v0, v3, v13 :: v_dual_fmac_f32 v7, v1, v19
	v_fmac_f32_e32 v9, v3, v12
	s_delay_alu instid0(VALU_DEP_2)
	v_fma_f32 v8, v2, v12, -v0
	ds_load_2addr_b64 v[0:3], v248 offset0:84 offset1:165
	s_wait_dscnt 0x0
	v_mul_f32_e32 v4, v1, v22
	v_mul_f32_e32 v11, v0, v22
	v_dual_mul_f32 v13, v2, v15 :: v_dual_lshlrev_b32 v22, 4, v108
	s_delay_alu instid0(VALU_DEP_3) | instskip(NEXT) | instid1(VALU_DEP_3)
	v_fma_f32 v10, v0, v21, -v4
	v_dual_mul_f32 v0, v3, v15 :: v_dual_fmac_f32 v11, v1, v21
	s_delay_alu instid0(VALU_DEP_3) | instskip(SKIP_1) | instid1(VALU_DEP_3)
	v_fmac_f32_e32 v13, v3, v14
	v_lshlrev_b32_e32 v21, 4, v131
	v_fma_f32 v12, v2, v14, -v0
	ds_load_2addr_b64 v[0:3], v128 offset1:81
	v_sub_f32_e32 v14, v7, v11
	ds_load_2addr_b64 v[110:113], v128 offset0:162 offset1:243
	ds_load_2addr_b64 v[114:117], v253 offset0:76 offset1:157
	;; [unrolled: 1-line block ×12, first 2 shown]
	s_wait_dscnt 0xc
	v_dual_add_f32 v5, v1, v7 :: v_dual_add_f32 v4, v0, v6
	v_add_f32_e32 v7, v7, v11
	s_delay_alu instid0(VALU_DEP_2) | instskip(SKIP_1) | instid1(VALU_DEP_4)
	v_add_f32_e32 v5, v5, v11
	v_add_f32_e32 v11, v6, v10
	;; [unrolled: 1-line block ×3, first 2 shown]
	s_delay_alu instid0(VALU_DEP_4) | instskip(SKIP_1) | instid1(VALU_DEP_4)
	v_fma_f32 v1, -0.5, v7, v1
	v_sub_f32_e32 v10, v6, v10
	v_fma_f32 v0, -0.5, v11, v0
	s_delay_alu instid0(VALU_DEP_2) | instskip(NEXT) | instid1(VALU_DEP_2)
	v_fmamk_f32 v7, v10, 0xbf5db3d7, v1
	v_dual_fmac_f32 v1, 0x3f5db3d7, v10 :: v_dual_fmamk_f32 v6, v14, 0x3f5db3d7, v0
	v_fmac_f32_e32 v0, 0xbf5db3d7, v14
	ds_store_b64 v128, v[6:7] offset:6480
	ds_store_b64 v128, v[0:1] offset:12960
	v_dual_add_f32 v0, v2, v8 :: v_dual_add_f32 v1, v3, v9
	s_delay_alu instid0(VALU_DEP_1) | instskip(SKIP_3) | instid1(VALU_DEP_2)
	v_dual_add_f32 v0, v0, v12 :: v_dual_add_f32 v1, v1, v13
	ds_store_2addr_b64 v128, v[4:5], v[0:1] offset1:81
	v_dual_add_f32 v0, v8, v12 :: v_dual_sub_f32 v1, v9, v13
	v_sub_f32_e32 v4, v8, v12
	v_fma_f32 v2, -0.5, v0, v2
	v_add_f32_e32 v0, v9, v13
	s_delay_alu instid0(VALU_DEP_1) | instskip(NEXT) | instid1(VALU_DEP_1)
	v_dual_fmac_f32 v3, -0.5, v0 :: v_dual_fmamk_f32 v0, v1, 0x3f5db3d7, v2
	v_dual_fmac_f32 v2, 0xbf5db3d7, v1 :: v_dual_fmamk_f32 v1, v4, 0xbf5db3d7, v3
	v_fmac_f32_e32 v3, 0x3f5db3d7, v4
	v_lshlrev_b32_e32 v4, 4, v96
	s_clause 0x1
	global_load_b128 v[100:103], v98, s[10:11] offset:6400
	global_load_b128 v[96:99], v4, s[10:11] offset:6400
	s_wait_loadcnt_dscnt 0x10d
	v_mul_f32_e32 v4, v115, v101
	v_mul_f32_e32 v9, v114, v101
	s_wait_dscnt 0xc
	v_mul_f32_e32 v11, v118, v103
	s_wait_loadcnt 0x0
	v_mul_f32_e32 v13, v120, v99
	v_fma_f32 v8, v114, v100, -v4
	v_mul_f32_e32 v4, v119, v103
	v_fmac_f32_e32 v9, v115, v100
	v_fmac_f32_e32 v11, v119, v102
	;; [unrolled: 1-line block ×3, first 2 shown]
	s_delay_alu instid0(VALU_DEP_4) | instskip(NEXT) | instid1(VALU_DEP_1)
	v_fma_f32 v10, v118, v102, -v4
	v_dual_sub_f32 v5, v9, v11 :: v_dual_add_f32 v4, v8, v10
	v_sub_f32_e32 v12, v8, v10
	s_delay_alu instid0(VALU_DEP_2) | instskip(NEXT) | instid1(VALU_DEP_1)
	v_fma_f32 v4, -0.5, v4, v110
	v_fmamk_f32 v6, v5, 0x3f5db3d7, v4
	v_dual_fmac_f32 v4, 0xbf5db3d7, v5 :: v_dual_add_f32 v5, v9, v11
	s_delay_alu instid0(VALU_DEP_1) | instskip(NEXT) | instid1(VALU_DEP_1)
	v_fma_f32 v5, -0.5, v5, v111
	v_fmamk_f32 v7, v12, 0xbf5db3d7, v5
	v_fmac_f32_e32 v5, 0x3f5db3d7, v12
	ds_store_2addr_b64 v245, v[0:1], v[6:7] offset0:123 offset1:204
	ds_store_2addr_b64 v248, v[2:3], v[4:5] offset0:165 offset1:246
	v_mul_f32_e32 v2, v117, v97
	v_dual_mul_f32 v5, v116, v97 :: v_dual_add_f32 v0, v110, v8
	v_add_f32_e32 v1, v111, v9
	s_delay_alu instid0(VALU_DEP_3) | instskip(NEXT) | instid1(VALU_DEP_3)
	v_fma_f32 v4, v116, v96, -v2
	v_fmac_f32_e32 v5, v117, v96
	v_mul_f32_e32 v2, v121, v99
	s_delay_alu instid0(VALU_DEP_4) | instskip(NEXT) | instid1(VALU_DEP_3)
	v_dual_add_f32 v0, v0, v10 :: v_dual_add_f32 v1, v1, v11
	v_add_f32_e32 v3, v113, v5
	s_delay_alu instid0(VALU_DEP_3) | instskip(NEXT) | instid1(VALU_DEP_2)
	v_fma_f32 v12, v120, v98, -v2
	v_dual_add_f32 v2, v112, v4 :: v_dual_add_f32 v3, v3, v13
	s_delay_alu instid0(VALU_DEP_1)
	v_add_f32_e32 v2, v2, v12
	ds_store_2addr_b64 v128, v[0:1], v[2:3] offset0:162 offset1:243
	v_add_f32_e32 v0, v4, v12
	v_sub_f32_e32 v2, v4, v12
	v_dual_mov_b32 v129, v31 :: v_dual_lshlrev_b32 v12, 4, v129
	v_sub_f32_e32 v1, v5, v13
	s_delay_alu instid0(VALU_DEP_4) | instskip(SKIP_3) | instid1(VALU_DEP_3)
	v_fma_f32 v112, -0.5, v0, v112
	v_dual_add_f32 v0, v5, v13 :: v_dual_lshlrev_b32 v3, 4, v18
	v_lshlrev_b32_e32 v13, 4, v130
	v_add_nc_u32_e32 v18, 0x3c00, v128
	v_dual_mov_b32 v130, v248 :: v_dual_fmac_f32 v113, -0.5, v0
	v_fmamk_f32 v0, v1, 0x3f5db3d7, v112
	s_delay_alu instid0(VALU_DEP_2)
	v_dual_fmac_f32 v112, 0xbf5db3d7, v1 :: v_dual_fmamk_f32 v1, v2, 0xbf5db3d7, v113
	v_dual_fmac_f32 v113, 0x3f5db3d7, v2 :: v_dual_lshlrev_b32 v2, 4, v109
	s_clause 0x1
	global_load_b128 v[124:127], v2, s[10:11] offset:6400
	global_load_b128 v[116:119], v3, s[10:11] offset:6400
	s_wait_loadcnt_dscnt 0x10d
	v_mul_f32_e32 v2, v205, v125
	v_mul_f32_e32 v7, v204, v125
	s_wait_dscnt 0xc
	v_mul_f32_e32 v9, v208, v127
	s_wait_loadcnt 0x0
	v_mul_f32_e32 v11, v210, v119
	v_fma_f32 v6, v204, v124, -v2
	v_mul_f32_e32 v2, v209, v127
	v_fmac_f32_e32 v7, v205, v124
	v_fmac_f32_e32 v9, v209, v126
	;; [unrolled: 1-line block ×3, first 2 shown]
	s_delay_alu instid0(VALU_DEP_4) | instskip(NEXT) | instid1(VALU_DEP_1)
	v_fma_f32 v8, v208, v126, -v2
	v_dual_sub_f32 v3, v7, v9 :: v_dual_add_f32 v2, v6, v8
	v_sub_f32_e32 v10, v6, v8
	s_delay_alu instid0(VALU_DEP_2) | instskip(NEXT) | instid1(VALU_DEP_1)
	v_fma_f32 v2, -0.5, v2, v200
	v_fmamk_f32 v4, v3, 0x3f5db3d7, v2
	v_dual_fmac_f32 v2, 0xbf5db3d7, v3 :: v_dual_add_f32 v3, v7, v9
	s_delay_alu instid0(VALU_DEP_1) | instskip(NEXT) | instid1(VALU_DEP_1)
	v_fma_f32 v3, -0.5, v3, v201
	v_fmamk_f32 v5, v10, 0xbf5db3d7, v3
	v_dual_fmac_f32 v3, 0x3f5db3d7, v10 :: v_dual_mul_f32 v10, v211, v119
	ds_store_2addr_b64 v254, v[112:113], v[2:3] offset0:71 offset1:152
	s_clause 0x3
	global_load_b128 v[120:123], v12, s[10:11] offset:6400
	global_load_b128 v[112:115], v13, s[10:11] offset:6400
	;; [unrolled: 1-line block ×4, first 2 shown]
	v_mul_f32_e32 v2, v207, v117
	v_mul_f32_e32 v3, v206, v117
	v_fma_f32 v10, v210, v118, -v10
	ds_store_2addr_b64 v246, v[0:1], v[4:5] offset0:29 offset1:110
	v_fma_f32 v2, v206, v116, -v2
	s_delay_alu instid0(VALU_DEP_1) | instskip(SKIP_1) | instid1(VALU_DEP_2)
	v_dual_fmac_f32 v3, v207, v116 :: v_dual_add_f32 v0, v2, v10
	v_add_f32_e32 v25, v202, v2
	v_sub_f32_e32 v1, v3, v11
	v_add_f32_e32 v26, v203, v3
	v_sub_f32_e32 v2, v2, v10
	v_fma_f32 v202, -0.5, v0, v202
	s_delay_alu instid0(VALU_DEP_1) | instskip(SKIP_1) | instid1(VALU_DEP_1)
	v_fmamk_f32 v0, v1, 0x3f5db3d7, v202
	v_dual_fmac_f32 v202, 0xbf5db3d7, v1 :: v_dual_add_f32 v1, v3, v11
	v_fmac_f32_e32 v203, -0.5, v1
	s_delay_alu instid0(VALU_DEP_1)
	v_fmamk_f32 v1, v2, 0xbf5db3d7, v203
	s_wait_loadcnt_dscnt 0x30c
	v_dual_fmac_f32 v203, 0x3f5db3d7, v2 :: v_dual_mul_f32 v12, v217, v121
	s_wait_dscnt 0xb
	v_dual_mul_f32 v16, v221, v123 :: v_dual_mul_f32 v13, v216, v121
	s_wait_loadcnt 0x2
	v_dual_mul_f32 v17, v220, v123 :: v_dual_mul_f32 v14, v219, v113
	v_fma_f32 v12, v216, v120, -v12
	s_delay_alu instid0(VALU_DEP_3) | instskip(SKIP_1) | instid1(VALU_DEP_4)
	v_fma_f32 v16, v220, v122, -v16
	v_fmac_f32_e32 v13, v217, v120
	v_fmac_f32_e32 v17, v221, v122
	v_mul_f32_e32 v15, v218, v113
	v_fma_f32 v14, v218, v112, -v14
	v_add_f32_e32 v2, v12, v16
	v_sub_f32_e32 v27, v12, v16
	v_sub_f32_e32 v3, v13, v17
	v_fmac_f32_e32 v15, v219, v112
	v_mul_f32_e32 v19, v223, v115
	v_fma_f32 v2, -0.5, v2, v212
	s_wait_loadcnt_dscnt 0x109
	v_dual_mul_f32 v20, v222, v115 :: v_dual_mul_f32 v21, v229, v109
	v_mul_f32_e32 v22, v228, v109
	v_fma_f32 v19, v222, v114, -v19
	v_fmamk_f32 v4, v3, 0x3f5db3d7, v2
	v_dual_fmac_f32 v2, 0xbf5db3d7, v3 :: v_dual_add_f32 v3, v13, v17
	v_fmac_f32_e32 v20, v223, v114
	s_wait_dscnt 0x8
	v_mul_f32_e32 v28, v232, v111
	v_fma_f32 v21, v228, v108, -v21
	v_fmac_f32_e32 v22, v229, v108
	v_fma_f32 v3, -0.5, v3, v213
	s_wait_loadcnt 0x0
	v_mul_f32_e32 v23, v231, v42
	v_fmac_f32_e32 v28, v233, v110
	v_mul_f32_e32 v24, v230, v42
	v_dual_mul_f32 v30, v234, v44 :: v_dual_fmamk_f32 v5, v27, 0xbf5db3d7, v3
	v_fmac_f32_e32 v3, 0x3f5db3d7, v27
	v_fma_f32 v23, v230, v41, -v23
	s_delay_alu instid0(VALU_DEP_4) | instskip(NEXT) | instid1(VALU_DEP_4)
	v_fmac_f32_e32 v24, v231, v41
	v_fmac_f32_e32 v30, v235, v43
	ds_store_2addr_b64 v18, v[202:203], v[2:3] offset0:105 offset1:186
	v_add_f32_e32 v2, v200, v6
	v_mul_f32_e32 v6, v233, v111
	v_add_f32_e32 v3, v201, v7
	v_add_f32_e32 v7, v26, v11
	s_delay_alu instid0(VALU_DEP_4) | instskip(NEXT) | instid1(VALU_DEP_4)
	v_add_f32_e32 v2, v2, v8
	v_fma_f32 v27, v232, v110, -v6
	v_mul_f32_e32 v6, v235, v44
	v_add_f32_e32 v3, v3, v9
	v_mov_b32_e32 v47, v32
	s_delay_alu instid0(VALU_DEP_3)
	v_fma_f32 v29, v234, v43, -v6
	v_add_f32_e32 v6, v25, v10
	ds_store_2addr_b64 v40, v[2:3], v[6:7] offset0:68 offset1:149
	v_dual_add_f32 v3, v215, v15 :: v_dual_add_nc_u32 v2, 0x2400, v128
	v_dual_sub_f32 v6, v22, v28 :: v_dual_sub_f32 v7, v21, v27
	ds_store_2addr_b64 v2, v[0:1], v[4:5] offset0:63 offset1:144
	v_mov_b32_e32 v46, v2
	v_dual_add_f32 v0, v212, v12 :: v_dual_add_f32 v1, v213, v13
	v_dual_add_f32 v2, v214, v14 :: v_dual_add_f32 v3, v3, v20
	s_delay_alu instid0(VALU_DEP_2) | instskip(NEXT) | instid1(VALU_DEP_2)
	v_dual_add_f32 v0, v0, v16 :: v_dual_add_f32 v1, v1, v17
	v_add_f32_e32 v2, v2, v19
	ds_store_2addr_b64 v32, v[0:1], v[2:3] offset0:102 offset1:183
	v_dual_add_f32 v0, v14, v19 :: v_dual_sub_f32 v1, v15, v20
	v_sub_f32_e32 v2, v14, v19
	v_add_f32_e32 v3, v22, v28
	s_delay_alu instid0(VALU_DEP_3) | instskip(SKIP_1) | instid1(VALU_DEP_3)
	v_fma_f32 v214, -0.5, v0, v214
	v_add_f32_e32 v0, v15, v20
	v_fma_f32 v3, -0.5, v3, v225
	s_delay_alu instid0(VALU_DEP_2) | instskip(NEXT) | instid1(VALU_DEP_2)
	v_dual_fmac_f32 v215, -0.5, v0 :: v_dual_fmamk_f32 v0, v1, 0x3f5db3d7, v214
	v_dual_fmac_f32 v214, 0xbf5db3d7, v1 :: v_dual_fmamk_f32 v5, v7, 0xbf5db3d7, v3
	v_fmac_f32_e32 v3, 0x3f5db3d7, v7
	s_delay_alu instid0(VALU_DEP_3) | instskip(SKIP_3) | instid1(VALU_DEP_1)
	v_fmamk_f32 v1, v2, 0xbf5db3d7, v215
	v_dual_fmac_f32 v215, 0x3f5db3d7, v2 :: v_dual_add_f32 v2, v21, v27
	ds_store_b64 v128, v[214:215] offset:17496
	v_fma_f32 v2, -0.5, v2, v224
	v_fmamk_f32 v4, v6, 0x3f5db3d7, v2
	v_fmac_f32_e32 v2, 0xbf5db3d7, v6
	v_sub_f32_e32 v6, v23, v29
	ds_store_2addr_b64 v247, v[0:1], v[4:5] offset0:97 offset1:178
	v_add_f32_e32 v0, v23, v29
	v_dual_add_f32 v4, v226, v23 :: v_dual_sub_f32 v1, v24, v30
	v_add_f32_e32 v5, v227, v24
	s_delay_alu instid0(VALU_DEP_3) | instskip(NEXT) | instid1(VALU_DEP_2)
	v_fma_f32 v226, -0.5, v0, v226
	v_dual_add_f32 v4, v4, v29 :: v_dual_add_f32 v5, v5, v30
	s_delay_alu instid0(VALU_DEP_2) | instskip(SKIP_1) | instid1(VALU_DEP_1)
	v_fmamk_f32 v0, v1, 0x3f5db3d7, v226
	v_dual_fmac_f32 v226, 0xbf5db3d7, v1 :: v_dual_add_f32 v1, v24, v30
	v_fmac_f32_e32 v227, -0.5, v1
	s_delay_alu instid0(VALU_DEP_1) | instskip(SKIP_3) | instid1(VALU_DEP_1)
	v_fmamk_f32 v1, v6, 0xbf5db3d7, v227
	v_fmac_f32_e32 v227, 0x3f5db3d7, v6
	ds_store_2addr_b64 v31, v[2:3], v[226:227] offset0:92 offset1:173
	v_dual_add_f32 v2, v224, v21 :: v_dual_add_f32 v3, v225, v22
	v_dual_add_f32 v2, v2, v27 :: v_dual_add_f32 v3, v3, v28
	ds_store_2addr_b64 v45, v[2:3], v[4:5] offset0:136 offset1:217
	ds_store_b64 v128, v[0:1] offset:12312
	global_wb scope:SCOPE_SE
	s_wait_storecnt_dscnt 0x0
	s_barrier_signal -1
	s_barrier_wait -1
	global_inv scope:SCOPE_SE
	s_clause 0x1
	global_load_b64 v[4:5], v128, s[8:9] offset:19440
	global_load_b64 v[6:7], v128, s[2:3] offset:18792
	ds_load_2addr_b64 v[0:3], v128 offset1:81
	s_wait_loadcnt_dscnt 0x100
	v_mul_f32_e32 v8, v1, v5
	v_mul_f32_e32 v9, v0, v5
	s_delay_alu instid0(VALU_DEP_2) | instskip(NEXT) | instid1(VALU_DEP_2)
	v_fma_f32 v8, v0, v4, -v8
	v_fmac_f32_e32 v9, v1, v4
	s_clause 0x2
	global_load_b64 v[0:1], v128, s[2:3] offset:648
	global_load_b64 v[4:5], v128, s[2:3] offset:2592
	;; [unrolled: 1-line block ×3, first 2 shown]
	ds_store_b64 v128, v[8:9]
	s_clause 0x3
	global_load_b64 v[8:9], v128, s[2:3] offset:3888
	global_load_b64 v[14:15], v128, s[2:3] offset:4536
	;; [unrolled: 1-line block ×4, first 2 shown]
	s_wait_loadcnt 0x6
	v_mul_f32_e32 v12, v3, v1
	v_mul_f32_e32 v13, v2, v1
	s_delay_alu instid0(VALU_DEP_2) | instskip(NEXT) | instid1(VALU_DEP_2)
	v_fma_f32 v12, v2, v0, -v12
	v_fmac_f32_e32 v13, v3, v0
	ds_load_2addr_b64 v[0:3], v32 offset0:102 offset1:183
	s_wait_loadcnt_dscnt 0x300
	v_mul_f32_e32 v21, v1, v9
	s_wait_loadcnt 0x2
	v_dual_mul_f32 v22, v0, v9 :: v_dual_mul_f32 v9, v2, v15
	s_delay_alu instid0(VALU_DEP_2) | instskip(SKIP_1) | instid1(VALU_DEP_3)
	v_fma_f32 v21, v0, v8, -v21
	v_mul_f32_e32 v0, v3, v15
	v_dual_fmac_f32 v22, v1, v8 :: v_dual_fmac_f32 v9, v3, v14
	s_delay_alu instid0(VALU_DEP_2)
	v_fma_f32 v8, v2, v14, -v0
	s_clause 0x1
	global_load_b64 v[14:15], v128, s[2:3] offset:7776
	global_load_b64 v[23:24], v128, s[2:3] offset:7128
	ds_load_2addr_b64 v[0:3], v253 offset0:76 offset1:157
	s_wait_loadcnt_dscnt 0x100
	v_mul_f32_e32 v25, v1, v15
	v_mul_f32_e32 v26, v0, v15
	s_delay_alu instid0(VALU_DEP_2) | instskip(NEXT) | instid1(VALU_DEP_2)
	v_fma_f32 v25, v0, v14, -v25
	v_fmac_f32_e32 v26, v1, v14
	s_clause 0x6
	global_load_b64 v[0:1], v128, s[2:3] offset:8424
	global_load_b64 v[14:15], v128, s[2:3] offset:10368
	;; [unrolled: 1-line block ×7, first 2 shown]
	s_wait_loadcnt 0x6
	v_mul_f32_e32 v29, v3, v1
	v_mul_f32_e32 v30, v2, v1
	s_delay_alu instid0(VALU_DEP_2) | instskip(NEXT) | instid1(VALU_DEP_2)
	v_fma_f32 v29, v2, v0, -v29
	v_fmac_f32_e32 v30, v3, v0
	ds_load_2addr_b64 v[0:3], v255 offset0:50 offset1:131
	s_wait_loadcnt_dscnt 0x300
	v_mul_f32_e32 v35, v1, v32
	s_wait_loadcnt 0x2
	v_dual_mul_f32 v205, v0, v32 :: v_dual_mul_f32 v32, v2, v34
	s_delay_alu instid0(VALU_DEP_2) | instskip(NEXT) | instid1(VALU_DEP_2)
	v_fma_f32 v204, v0, v31, -v35
	v_dual_mul_f32 v0, v3, v34 :: v_dual_fmac_f32 v205, v1, v31
	s_delay_alu instid0(VALU_DEP_3) | instskip(NEXT) | instid1(VALU_DEP_2)
	v_fmac_f32_e32 v32, v3, v33
	v_fma_f32 v31, v2, v33, -v0
	s_clause 0x1
	global_load_b64 v[33:34], v128, s[2:3] offset:15552
	global_load_b64 v[206:207], v128, s[2:3] offset:14904
	ds_load_2addr_b64 v[0:3], v254 offset0:152 offset1:233
	s_wait_loadcnt_dscnt 0x100
	v_mul_f32_e32 v35, v1, v34
	v_mul_f32_e32 v209, v0, v34
	s_delay_alu instid0(VALU_DEP_2) | instskip(NEXT) | instid1(VALU_DEP_2)
	v_fma_f32 v208, v0, v33, -v35
	v_fmac_f32_e32 v209, v1, v33
	s_clause 0x3
	global_load_b64 v[0:1], v128, s[2:3] offset:16200
	global_load_b64 v[33:34], v128, s[2:3] offset:18144
	;; [unrolled: 1-line block ×4, first 2 shown]
	s_wait_loadcnt 0x3
	v_mul_f32_e32 v35, v3, v1
	v_mul_f32_e32 v213, v2, v1
	s_delay_alu instid0(VALU_DEP_2) | instskip(NEXT) | instid1(VALU_DEP_2)
	v_fma_f32 v212, v2, v0, -v35
	v_fmac_f32_e32 v213, v3, v0
	ds_load_2addr_b64 v[0:3], v128 offset0:162 offset1:243
	s_wait_loadcnt_dscnt 0x0
	v_mul_f32_e32 v35, v3, v215
	v_mul_f32_e32 v217, v2, v215
	;; [unrolled: 1-line block ×3, first 2 shown]
	s_delay_alu instid0(VALU_DEP_3) | instskip(NEXT) | instid1(VALU_DEP_3)
	v_fma_f32 v216, v2, v214, -v35
	v_dual_mul_f32 v2, v1, v11 :: v_dual_fmac_f32 v217, v3, v214
	s_delay_alu instid0(VALU_DEP_3) | instskip(NEXT) | instid1(VALU_DEP_2)
	v_fmac_f32_e32 v215, v1, v10
	v_fma_f32 v214, v0, v10, -v2
	ds_load_2addr_b64 v[0:3], v40 offset0:68 offset1:149
	s_wait_dscnt 0x0
	v_mul_f32_e32 v10, v1, v5
	v_mul_f32_e32 v11, v0, v5
	;; [unrolled: 1-line block ×3, first 2 shown]
	s_delay_alu instid0(VALU_DEP_3) | instskip(SKIP_1) | instid1(VALU_DEP_4)
	v_fma_f32 v10, v0, v4, -v10
	v_mul_f32_e32 v0, v3, v20
	v_fmac_f32_e32 v11, v1, v4
	s_delay_alu instid0(VALU_DEP_4) | instskip(NEXT) | instid1(VALU_DEP_3)
	v_fmac_f32_e32 v5, v3, v19
	v_fma_f32 v4, v2, v19, -v0
	s_clause 0x1
	global_load_b64 v[19:20], v128, s[2:3] offset:5832
	global_load_b64 v[218:219], v128, s[2:3] offset:6480
	ds_load_2addr_b64 v[0:3], v45 offset0:136 offset1:217
	s_wait_loadcnt_dscnt 0x100
	v_mul_f32_e32 v35, v3, v20
	v_dual_mul_f32 v221, v2, v20 :: v_dual_mul_f32 v20, v0, v17
	s_delay_alu instid0(VALU_DEP_2) | instskip(NEXT) | instid1(VALU_DEP_2)
	v_fma_f32 v220, v2, v19, -v35
	v_dual_mul_f32 v2, v1, v17 :: v_dual_fmac_f32 v221, v3, v19
	s_delay_alu instid0(VALU_DEP_3) | instskip(NEXT) | instid1(VALU_DEP_2)
	v_fmac_f32_e32 v20, v1, v16
	v_fma_f32 v19, v0, v16, -v2
	ds_load_2addr_b64 v[0:3], v245 offset0:42 offset1:123
	s_wait_loadcnt_dscnt 0x0
	v_mul_f32_e32 v16, v1, v219
	v_mul_f32_e32 v17, v0, v219
	;; [unrolled: 1-line block ×3, first 2 shown]
	s_delay_alu instid0(VALU_DEP_3) | instskip(NEXT) | instid1(VALU_DEP_3)
	v_fma_f32 v16, v0, v218, -v16
	v_dual_mul_f32 v0, v3, v24 :: v_dual_fmac_f32 v17, v1, v218
	s_delay_alu instid0(VALU_DEP_3) | instskip(NEXT) | instid1(VALU_DEP_2)
	v_fmac_f32_e32 v219, v3, v23
	v_fma_f32 v218, v2, v23, -v0
	global_load_b64 v[23:24], v128, s[2:3] offset:9720
	ds_load_2addr_b64 v[0:3], v246 offset0:110 offset1:191
	s_wait_loadcnt_dscnt 0x0
	v_mul_f32_e32 v35, v3, v24
	v_mul_f32_e32 v223, v2, v24
	;; [unrolled: 1-line block ×3, first 2 shown]
	s_delay_alu instid0(VALU_DEP_3) | instskip(NEXT) | instid1(VALU_DEP_3)
	v_fma_f32 v222, v2, v23, -v35
	v_dual_mul_f32 v2, v1, v28 :: v_dual_fmac_f32 v223, v3, v23
	s_delay_alu instid0(VALU_DEP_3) | instskip(NEXT) | instid1(VALU_DEP_2)
	v_fmac_f32_e32 v24, v1, v27
	v_fma_f32 v23, v0, v27, -v2
	ds_load_2addr_b64 v[0:3], v247 offset0:16 offset1:97
	s_wait_dscnt 0x0
	v_mul_f32_e32 v27, v1, v15
	v_mul_f32_e32 v28, v0, v15
	;; [unrolled: 1-line block ×3, first 2 shown]
	s_delay_alu instid0(VALU_DEP_3) | instskip(SKIP_1) | instid1(VALU_DEP_4)
	v_fma_f32 v27, v0, v14, -v27
	v_mul_f32_e32 v0, v3, v203
	v_fmac_f32_e32 v28, v1, v14
	s_delay_alu instid0(VALU_DEP_4) | instskip(NEXT) | instid1(VALU_DEP_3)
	v_fmac_f32_e32 v15, v3, v202
	v_fma_f32 v14, v2, v202, -v0
	s_clause 0x1
	global_load_b64 v[202:203], v128, s[2:3] offset:13608
	global_load_b64 v[224:225], v128, s[2:3] offset:14256
	ds_load_2addr_b64 v[0:3], v248 offset0:84 offset1:165
	s_wait_loadcnt_dscnt 0x100
	v_dual_mul_f32 v35, v3, v203 :: v_dual_add_nc_u32 v248, 0x4000, v128
	v_mul_f32_e32 v227, v2, v203
	v_mul_f32_e32 v203, v0, v201
	s_delay_alu instid0(VALU_DEP_3) | instskip(NEXT) | instid1(VALU_DEP_3)
	v_fma_f32 v226, v2, v202, -v35
	v_dual_mul_f32 v2, v1, v201 :: v_dual_fmac_f32 v227, v3, v202
	s_delay_alu instid0(VALU_DEP_3) | instskip(NEXT) | instid1(VALU_DEP_2)
	v_fmac_f32_e32 v203, v1, v200
	v_fma_f32 v202, v0, v200, -v2
	ds_load_2addr_b64 v[0:3], v244 offset0:118 offset1:199
	s_wait_loadcnt_dscnt 0x0
	v_mul_f32_e32 v35, v1, v225
	v_mul_f32_e32 v201, v0, v225
	;; [unrolled: 1-line block ×3, first 2 shown]
	s_delay_alu instid0(VALU_DEP_3) | instskip(NEXT) | instid1(VALU_DEP_3)
	v_fma_f32 v200, v0, v224, -v35
	v_dual_mul_f32 v0, v3, v207 :: v_dual_fmac_f32 v201, v1, v224
	s_delay_alu instid0(VALU_DEP_3) | instskip(NEXT) | instid1(VALU_DEP_2)
	v_fmac_f32_e32 v225, v3, v206
	v_fma_f32 v224, v2, v206, -v0
	global_load_b64 v[206:207], v128, s[2:3] offset:17496
	ds_load_2addr_b64 v[0:3], v248 offset0:58 offset1:139
	s_mov_b32 s2, 0x40e53dbc
	s_mov_b32 s3, 0x3f3af834
	s_wait_loadcnt_dscnt 0x0
	v_mul_f32_e32 v35, v3, v207
	v_mul_f32_e32 v229, v2, v207
	;; [unrolled: 1-line block ×3, first 2 shown]
	s_delay_alu instid0(VALU_DEP_3) | instskip(NEXT) | instid1(VALU_DEP_3)
	v_fma_f32 v228, v2, v206, -v35
	v_dual_mul_f32 v2, v1, v211 :: v_dual_fmac_f32 v229, v3, v206
	s_delay_alu instid0(VALU_DEP_3) | instskip(NEXT) | instid1(VALU_DEP_2)
	v_fmac_f32_e32 v207, v1, v210
	v_fma_f32 v206, v0, v210, -v2
	ds_load_2addr_b64 v[0:3], v129 offset0:92 offset1:173
	s_wait_dscnt 0x0
	v_mul_f32_e32 v35, v1, v34
	v_mul_f32_e32 v211, v0, v34
	s_delay_alu instid0(VALU_DEP_2) | instskip(NEXT) | instid1(VALU_DEP_2)
	v_fma_f32 v210, v0, v33, -v35
	v_dual_mul_f32 v0, v3, v7 :: v_dual_fmac_f32 v211, v1, v33
	v_mul_f32_e32 v1, v2, v7
	s_delay_alu instid0(VALU_DEP_2) | instskip(NEXT) | instid1(VALU_DEP_2)
	v_fma_f32 v0, v2, v6, -v0
	v_dual_fmac_f32 v1, v3, v6 :: v_dual_add_nc_u32 v2, 0x400, v128
	ds_store_2addr_b64 v2, v[216:217], v[10:11] offset0:115 offset1:196
	v_add_nc_u32_e32 v2, 0x1400, v128
	ds_store_2addr_b64 v2, v[220:221], v[16:17] offset0:89 offset1:170
	ds_store_2addr_b64 v46, v[222:223], v[27:28] offset0:63 offset1:144
	;; [unrolled: 1-line block ×13, first 2 shown]
	ds_store_b64 v128, v[0:1] offset:18792
	global_wb scope:SCOPE_SE
	s_wait_dscnt 0x0
	s_barrier_signal -1
	s_barrier_wait -1
	global_inv scope:SCOPE_SE
	ds_load_2addr_b64 v[220:223], v47 offset0:102 offset1:183
	ds_load_2addr_b64 v[224:227], v253 offset0:76 offset1:157
	;; [unrolled: 1-line block ×9, first 2 shown]
	ds_load_2addr_b64 v[5:8], v128 offset1:81
	v_mov_b32_e32 v11, v40
	ds_load_2addr_b64 v[14:17], v11 offset0:68 offset1:149
	s_wait_dscnt 0x8
	v_sub_f32_e32 v45, v224, v232
	s_wait_dscnt 0x7
	v_sub_f32_e32 v1, v228, v232
	s_wait_dscnt 0x4
	v_dual_sub_f32 v31, v211, v219 :: v_dual_sub_f32 v0, v220, v224
	s_wait_dscnt 0x3
	v_dual_sub_f32 v21, v206, v214 :: v_dual_sub_f32 v20, v207, v215
	v_dual_sub_f32 v47, v220, v228 :: v_dual_sub_f32 v32, v210, v218
	s_delay_alu instid0(VALU_DEP_3) | instskip(SKIP_4) | instid1(VALU_DEP_3)
	v_add_f32_e32 v253, v0, v1
	v_sub_f32_e32 v0, v221, v225
	v_sub_f32_e32 v1, v229, v233
	;; [unrolled: 1-line block ×4, first 2 shown]
	v_dual_sub_f32 v3, v219, v215 :: v_dual_add_f32 v254, v0, v1
	v_sub_f32_e32 v0, v206, v210
	v_sub_f32_e32 v1, v214, v218
	s_delay_alu instid0(VALU_DEP_1)
	v_add_f32_e32 v2, v0, v1
	v_sub_f32_e32 v0, v207, v211
	v_sub_f32_e32 v1, v215, v219
	scratch_store_b32 off, v2, off offset:532 ; 4-byte Folded Spill
	v_dual_add_f32 v255, v0, v1 :: v_dual_add_f32 v0, v211, v219
	s_wait_dscnt 0x2
	s_delay_alu instid0(VALU_DEP_1) | instskip(SKIP_1) | instid1(VALU_DEP_1)
	v_fma_f32 v18, -0.5, v0, v203
	v_add_f32_e32 v0, v210, v218
	v_fma_f32 v248, -0.5, v0, v202
	s_delay_alu instid0(VALU_DEP_3) | instskip(NEXT) | instid1(VALU_DEP_2)
	v_fmamk_f32 v0, v21, 0x3f737871, v18
	v_fmamk_f32 v1, v20, 0xbf737871, v248
	s_delay_alu instid0(VALU_DEP_2) | instskip(NEXT) | instid1(VALU_DEP_2)
	v_fmac_f32_e32 v0, 0x3f167918, v32
	v_fmac_f32_e32 v1, 0xbf167918, v31
	s_delay_alu instid0(VALU_DEP_1) | instskip(NEXT) | instid1(VALU_DEP_1)
	v_dual_fmac_f32 v0, 0x3e9e377a, v255 :: v_dual_fmac_f32 v1, 0x3e9e377a, v2
	v_mul_f32_e32 v22, 0xbf167918, v0
	s_delay_alu instid0(VALU_DEP_2) | instskip(NEXT) | instid1(VALU_DEP_1)
	v_mul_f32_e32 v19, 0x3f167918, v1
	v_dual_fmac_f32 v19, 0x3f4f1bbd, v0 :: v_dual_fmac_f32 v22, 0x3f4f1bbd, v1
	v_sub_f32_e32 v0, v224, v220
	v_sub_f32_e32 v1, v232, v228
	s_delay_alu instid0(VALU_DEP_1) | instskip(SKIP_2) | instid1(VALU_DEP_1)
	v_add_f32_e32 v0, v0, v1
	v_add_f32_e32 v1, v220, v228
	s_wait_dscnt 0x1
	v_fma_f32 v33, -0.5, v1, v5
	v_sub_f32_e32 v1, v233, v229
	s_delay_alu instid0(VALU_DEP_2) | instskip(SKIP_1) | instid1(VALU_DEP_2)
	v_fmamk_f32 v35, v34, 0x3f737871, v33
	v_fmac_f32_e32 v33, 0xbf737871, v34
	v_fmac_f32_e32 v35, 0xbf167918, v9
	s_delay_alu instid0(VALU_DEP_2) | instskip(NEXT) | instid1(VALU_DEP_2)
	v_fmac_f32_e32 v33, 0x3f167918, v9
	v_fmac_f32_e32 v35, 0x3e9e377a, v0
	s_delay_alu instid0(VALU_DEP_2) | instskip(NEXT) | instid1(VALU_DEP_1)
	v_dual_fmac_f32 v33, 0x3e9e377a, v0 :: v_dual_sub_f32 v0, v225, v221
	v_add_f32_e32 v0, v0, v1
	v_add_f32_e32 v1, v221, v229
	s_delay_alu instid0(VALU_DEP_1) | instskip(NEXT) | instid1(VALU_DEP_1)
	v_fma_f32 v40, -0.5, v1, v6
	v_dual_sub_f32 v1, v218, v214 :: v_dual_fmamk_f32 v46, v45, 0xbf737871, v40
	v_fmac_f32_e32 v40, 0x3f737871, v45
	s_delay_alu instid0(VALU_DEP_2) | instskip(NEXT) | instid1(VALU_DEP_1)
	v_fmac_f32_e32 v46, 0x3f167918, v47
	v_fmac_f32_e32 v46, 0x3e9e377a, v0
	s_delay_alu instid0(VALU_DEP_3) | instskip(NEXT) | instid1(VALU_DEP_1)
	v_fmac_f32_e32 v40, 0xbf167918, v47
	v_fmac_f32_e32 v40, 0x3e9e377a, v0
	v_sub_f32_e32 v0, v210, v206
	s_delay_alu instid0(VALU_DEP_1) | instskip(NEXT) | instid1(VALU_DEP_1)
	v_dual_add_f32 v0, v0, v1 :: v_dual_add_f32 v1, v206, v214
	v_fma_f32 v1, -0.5, v1, v202
	s_delay_alu instid0(VALU_DEP_1) | instskip(SKIP_1) | instid1(VALU_DEP_2)
	v_fmamk_f32 v2, v31, 0x3f737871, v1
	v_fmac_f32_e32 v1, 0xbf737871, v31
	v_fmac_f32_e32 v2, 0xbf167918, v20
	s_delay_alu instid0(VALU_DEP_2) | instskip(NEXT) | instid1(VALU_DEP_2)
	v_fmac_f32_e32 v1, 0x3f167918, v20
	v_fmac_f32_e32 v2, 0x3e9e377a, v0
	s_delay_alu instid0(VALU_DEP_2) | instskip(NEXT) | instid1(VALU_DEP_1)
	v_dual_fmac_f32 v1, 0x3e9e377a, v0 :: v_dual_sub_f32 v0, v211, v207
	v_add_f32_e32 v0, v0, v3
	v_add_f32_e32 v3, v207, v215
	s_delay_alu instid0(VALU_DEP_1) | instskip(NEXT) | instid1(VALU_DEP_1)
	v_fma_f32 v3, -0.5, v3, v203
	v_fmamk_f32 v10, v32, 0xbf737871, v3
	v_fmac_f32_e32 v3, 0x3f737871, v32
	s_delay_alu instid0(VALU_DEP_2) | instskip(NEXT) | instid1(VALU_DEP_2)
	v_fmac_f32_e32 v10, 0x3f167918, v21
	v_fmac_f32_e32 v3, 0xbf167918, v21
	s_delay_alu instid0(VALU_DEP_2) | instskip(NEXT) | instid1(VALU_DEP_2)
	v_fmac_f32_e32 v10, 0x3e9e377a, v0
	v_fmac_f32_e32 v3, 0x3e9e377a, v0
	s_delay_alu instid0(VALU_DEP_2) | instskip(SKIP_1) | instid1(VALU_DEP_2)
	v_dual_add_f32 v0, v5, v220 :: v_dual_mul_f32 v129, 0xbf737871, v10
	v_mul_f32_e32 v130, 0x3e9e377a, v10
	v_dual_add_f32 v0, v0, v224 :: v_dual_mul_f32 v131, 0xbf737871, v3
	v_mul_f32_e32 v4, 0xbe9e377a, v3
	s_delay_alu instid0(VALU_DEP_4) | instskip(NEXT) | instid1(VALU_DEP_4)
	v_fmac_f32_e32 v129, 0x3e9e377a, v2
	v_fmac_f32_e32 v130, 0x3f737871, v2
	s_delay_alu instid0(VALU_DEP_4) | instskip(NEXT) | instid1(VALU_DEP_4)
	v_dual_add_f32 v0, v0, v232 :: v_dual_fmac_f32 v131, 0xbe9e377a, v1
	v_dual_fmac_f32 v4, 0x3f737871, v1 :: v_dual_add_f32 v1, v202, v206
	v_add_f32_e32 v2, v203, v207
	s_delay_alu instid0(VALU_DEP_3) | instskip(SKIP_1) | instid1(VALU_DEP_3)
	v_add_f32_e32 v228, v0, v228
	v_dual_add_f32 v0, v224, v232 :: v_dual_add_f32 v3, v225, v233
	v_dual_add_f32 v1, v1, v210 :: v_dual_add_f32 v2, v2, v211
	v_mov_b32_e32 v232, v247
	s_delay_alu instid0(VALU_DEP_3) | instskip(NEXT) | instid1(VALU_DEP_3)
	v_fma_f32 v5, -0.5, v0, v5
	v_dual_add_f32 v0, v6, v221 :: v_dual_add_f32 v1, v1, v218
	s_delay_alu instid0(VALU_DEP_4) | instskip(SKIP_1) | instid1(VALU_DEP_4)
	v_add_f32_e32 v2, v2, v219
	v_fma_f32 v6, -0.5, v3, v6
	v_fmamk_f32 v202, v9, 0xbf737871, v5
	s_delay_alu instid0(VALU_DEP_4)
	v_add_f32_e32 v0, v0, v225
	v_add_f32_e32 v206, v1, v214
	v_dual_add_f32 v210, v2, v215 :: v_dual_mov_b32 v225, v11
	ds_load_2addr_b64 v[10:13], v245 offset0:42 offset1:123
	v_dual_add_f32 v0, v0, v233 :: v_dual_mov_b32 v233, v245
	v_fmamk_f32 v203, v47, 0x3f737871, v6
	v_dual_fmac_f32 v5, 0x3f737871, v9 :: v_dual_fmac_f32 v248, 0x3f737871, v20
	s_delay_alu instid0(VALU_DEP_3)
	v_add_f32_e32 v207, v0, v229
	v_add_nc_u32_e32 v229, 0x4400, v128
	ds_load_2addr_b64 v[0:3], v247 offset0:16 offset1:97
	v_fmac_f32_e32 v202, 0xbf167918, v34
	v_fmac_f32_e32 v203, 0x3f167918, v45
	;; [unrolled: 1-line block ×3, first 2 shown]
	ds_load_2addr_b64 v[23:26], v229 offset0:92 offset1:173
	v_add_nc_u32_e32 v224, 0x3400, v128
	v_dual_fmac_f32 v202, 0x3e9e377a, v253 :: v_dual_fmac_f32 v203, 0x3e9e377a, v254
	v_add_f32_e32 v218, v228, v206
	v_add_f32_e32 v219, v207, v210
	ds_load_2addr_b64 v[244:247], v224 offset0:118 offset1:199
	global_wb scope:SCOPE_SE
	s_wait_storecnt_dscnt 0x0
	s_barrier_signal -1
	s_barrier_wait -1
	global_inv scope:SCOPE_SE
	scratch_load_b32 v211, off, off offset:252 th:TH_LOAD_LU ; 4-byte Folded Reload
	v_dual_add_f32 v221, v203, v19 :: v_dual_add_f32 v220, v202, v22
	v_add_f32_e32 v27, v35, v129
	v_add_f32_e32 v29, v33, v131
	v_fmac_f32_e32 v248, 0x3f167918, v31
	v_dual_fmac_f32 v5, 0x3e9e377a, v253 :: v_dual_add_f32 v30, v40, v4
	v_dual_add_f32 v31, v223, v231 :: v_dual_add_f32 v28, v46, v130
	s_wait_loadcnt 0x0
	ds_store_b128 v211, v[218:221]
	ds_store_b128 v211, v[27:30] offset:16
	scratch_load_b32 v9, off, off offset:532 th:TH_LOAD_LU ; 4-byte Folded Reload
	v_sub_f32_e32 v219, v203, v19
	v_sub_f32_e32 v203, v1, v245
	v_fmac_f32_e32 v18, 0xbf737871, v21
	v_sub_f32_e32 v218, v202, v22
	v_sub_f32_e32 v202, v11, v24
	v_dual_fmac_f32 v6, 0xbf737871, v47 :: v_dual_sub_f32 v221, v46, v130
	s_delay_alu instid0(VALU_DEP_4) | instskip(SKIP_2) | instid1(VALU_DEP_4)
	v_fmac_f32_e32 v18, 0xbf167918, v32
	v_sub_f32_e32 v130, v10, v23
	v_sub_f32_e32 v30, v207, v210
	v_dual_fmac_f32 v6, 0xbf167918, v45 :: v_dual_sub_f32 v19, v33, v131
	s_delay_alu instid0(VALU_DEP_4) | instskip(SKIP_1) | instid1(VALU_DEP_3)
	v_dual_fmac_f32 v18, 0x3e9e377a, v255 :: v_dual_sub_f32 v131, v0, v244
	v_sub_f32_e32 v220, v35, v129
	v_fmac_f32_e32 v6, 0x3e9e377a, v254
	v_dual_sub_f32 v34, v231, v235 :: v_dual_sub_f32 v33, v234, v230
	s_wait_loadcnt 0x0
	v_dual_sub_f32 v35, v235, v231 :: v_dual_fmac_f32 v248, 0x3e9e377a, v9
	v_mul_f32_e32 v9, 0xbf167918, v18
	s_delay_alu instid0(VALU_DEP_1) | instskip(NEXT) | instid1(VALU_DEP_1)
	v_dual_mul_f32 v18, 0xbf4f1bbd, v18 :: v_dual_fmac_f32 v9, 0xbf4f1bbd, v248
	v_dual_fmac_f32 v18, 0x3f167918, v248 :: v_dual_add_f32 v27, v5, v9
	v_sub_f32_e32 v21, v5, v9
	s_delay_alu instid0(VALU_DEP_2) | instskip(SKIP_2) | instid1(VALU_DEP_3)
	v_dual_add_f32 v5, v8, v223 :: v_dual_add_f32 v28, v6, v18
	v_sub_f32_e32 v22, v6, v18
	v_dual_sub_f32 v18, v222, v226 :: v_dual_sub_f32 v9, v227, v235
	v_add_f32_e32 v5, v5, v227
	s_delay_alu instid0(VALU_DEP_1) | instskip(NEXT) | instid1(VALU_DEP_1)
	v_add_f32_e32 v5, v5, v235
	v_add_f32_e32 v45, v5, v231
	v_sub_f32_e32 v29, v228, v206
	ds_store_b128 v211, v[27:30] offset:32
	ds_store_b128 v211, v[218:221] offset:48
	v_dual_add_f32 v29, v222, v230 :: v_dual_sub_f32 v20, v40, v4
	v_add_f32_e32 v4, v7, v222
	v_sub_f32_e32 v30, v222, v230
	v_sub_f32_e32 v27, v226, v234
	;; [unrolled: 1-line block ×3, first 2 shown]
	ds_store_b128 v211, v[19:22] offset:64
	v_dual_add_f32 v4, v4, v226 :: v_dual_sub_f32 v21, v223, v227
	v_sub_f32_e32 v5, v23, v244
	v_add_f32_e32 v18, v18, v32
	v_sub_f32_e32 v19, v226, v222
	s_delay_alu instid0(VALU_DEP_4)
	v_add_f32_e32 v4, v4, v234
	v_add_f32_e32 v32, v21, v34
	;; [unrolled: 1-line block ×3, first 2 shown]
	v_fma_f32 v29, -0.5, v29, v7
	v_sub_f32_e32 v28, v223, v231
	v_add_f32_e32 v40, v4, v230
	v_sub_f32_e32 v4, v10, v0
	s_delay_alu instid0(VALU_DEP_1) | instskip(SKIP_2) | instid1(VALU_DEP_1)
	v_add_f32_e32 v34, v4, v5
	v_sub_f32_e32 v4, v11, v1
	v_sub_f32_e32 v5, v24, v245
	v_add_f32_e32 v46, v4, v5
	v_add_f32_e32 v4, v1, v245
	s_delay_alu instid0(VALU_DEP_1) | instskip(SKIP_1) | instid1(VALU_DEP_1)
	v_fma_f32 v47, -0.5, v4, v15
	v_add_f32_e32 v4, v0, v244
	v_fma_f32 v129, -0.5, v4, v14
	s_delay_alu instid0(VALU_DEP_3) | instskip(SKIP_1) | instid1(VALU_DEP_3)
	v_fmamk_f32 v4, v130, 0x3f737871, v47
	v_fmac_f32_e32 v47, 0xbf737871, v130
	v_fmamk_f32 v5, v202, 0xbf737871, v129
	v_fmac_f32_e32 v129, 0x3f737871, v202
	s_delay_alu instid0(VALU_DEP_3) | instskip(NEXT) | instid1(VALU_DEP_3)
	v_fmac_f32_e32 v47, 0xbf167918, v131
	v_fmac_f32_e32 v5, 0xbf167918, v203
	s_delay_alu instid0(VALU_DEP_3) | instskip(NEXT) | instid1(VALU_DEP_3)
	v_fmac_f32_e32 v129, 0x3f167918, v203
	;; [unrolled: 3-line block ×3, first 2 shown]
	v_fmac_f32_e32 v129, 0x3e9e377a, v34
	v_fmac_f32_e32 v4, 0x3f167918, v131
	s_delay_alu instid0(VALU_DEP_3) | instskip(NEXT) | instid1(VALU_DEP_2)
	v_dual_sub_f32 v34, v13, v26 :: v_dual_mul_f32 v207, 0x3f167918, v5
	v_fmac_f32_e32 v4, 0x3e9e377a, v46
	s_delay_alu instid0(VALU_DEP_1) | instskip(NEXT) | instid1(VALU_DEP_3)
	v_mul_f32_e32 v206, 0xbf167918, v4
	v_dual_fmac_f32 v207, 0x3f4f1bbd, v4 :: v_dual_add_f32 v4, v19, v33
	v_fma_f32 v33, -0.5, v20, v8
	v_dual_fmac_f32 v8, -0.5, v31 :: v_dual_fmamk_f32 v31, v9, 0x3f737871, v29
	v_fmac_f32_e32 v29, 0xbf737871, v9
	v_dual_fmac_f32 v206, 0x3f4f1bbd, v5 :: v_dual_sub_f32 v5, v244, v23
	v_sub_f32_e32 v20, v245, v24
	s_delay_alu instid0(VALU_DEP_4) | instskip(NEXT) | instid1(VALU_DEP_4)
	v_fmac_f32_e32 v31, 0xbf167918, v28
	v_fmac_f32_e32 v29, 0x3f167918, v28
	s_delay_alu instid0(VALU_DEP_2) | instskip(NEXT) | instid1(VALU_DEP_2)
	v_fmac_f32_e32 v31, 0x3e9e377a, v4
	v_dual_fmac_f32 v29, 0x3e9e377a, v4 :: v_dual_sub_f32 v22, v227, v223
	s_delay_alu instid0(VALU_DEP_1) | instskip(SKIP_1) | instid1(VALU_DEP_2)
	v_dual_add_f32 v4, v22, v35 :: v_dual_fmamk_f32 v35, v27, 0xbf737871, v8
	v_fmac_f32_e32 v8, 0x3f737871, v27
	v_fmac_f32_e32 v35, 0x3f167918, v30
	s_delay_alu instid0(VALU_DEP_2) | instskip(NEXT) | instid1(VALU_DEP_2)
	v_fmac_f32_e32 v8, 0xbf167918, v30
	v_fmac_f32_e32 v35, 0x3e9e377a, v4
	s_delay_alu instid0(VALU_DEP_2) | instskip(SKIP_1) | instid1(VALU_DEP_1)
	v_fmac_f32_e32 v8, 0x3e9e377a, v4
	v_sub_f32_e32 v4, v0, v10
	v_dual_add_f32 v4, v4, v5 :: v_dual_add_f32 v5, v10, v23
	s_delay_alu instid0(VALU_DEP_1) | instskip(NEXT) | instid1(VALU_DEP_1)
	v_fma_f32 v5, -0.5, v5, v14
	v_fmamk_f32 v19, v203, 0x3f737871, v5
	v_fmac_f32_e32 v5, 0xbf737871, v203
	v_add_nc_u32_e32 v203, 0x3000, v128
	s_delay_alu instid0(VALU_DEP_3) | instskip(NEXT) | instid1(VALU_DEP_3)
	v_fmac_f32_e32 v19, 0xbf167918, v202
	v_fmac_f32_e32 v5, 0x3f167918, v202
	s_delay_alu instid0(VALU_DEP_2) | instskip(NEXT) | instid1(VALU_DEP_2)
	v_fmac_f32_e32 v19, 0x3e9e377a, v4
	v_dual_fmac_f32 v5, 0x3e9e377a, v4 :: v_dual_sub_f32 v4, v1, v11
	s_delay_alu instid0(VALU_DEP_1) | instskip(SKIP_1) | instid1(VALU_DEP_1)
	v_add_f32_e32 v4, v4, v20
	v_add_f32_e32 v20, v11, v24
	v_fma_f32 v20, -0.5, v20, v15
	s_delay_alu instid0(VALU_DEP_1) | instskip(SKIP_1) | instid1(VALU_DEP_2)
	v_fmamk_f32 v21, v131, 0xbf737871, v20
	v_fmac_f32_e32 v20, 0x3f737871, v131
	v_fmac_f32_e32 v21, 0x3f167918, v130
	s_delay_alu instid0(VALU_DEP_2) | instskip(NEXT) | instid1(VALU_DEP_2)
	v_fmac_f32_e32 v20, 0xbf167918, v130
	v_fmac_f32_e32 v21, 0x3e9e377a, v4
	s_delay_alu instid0(VALU_DEP_2)
	v_fmac_f32_e32 v20, 0x3e9e377a, v4
	v_add_f32_e32 v4, v14, v10
	scratch_load_b32 v14, off, off offset:384 th:TH_LOAD_LU ; 4-byte Folded Reload
	v_mul_f32_e32 v210, 0xbf737871, v21
	v_dual_mul_f32 v211, 0x3e9e377a, v21 :: v_dual_add_f32 v0, v4, v0
	v_dual_add_f32 v4, v15, v11 :: v_dual_fmamk_f32 v11, v30, 0x3f737871, v33
	v_add_f32_e32 v6, v226, v234
	s_delay_alu instid0(VALU_DEP_4) | instskip(NEXT) | instid1(VALU_DEP_4)
	v_fmac_f32_e32 v210, 0x3e9e377a, v19
	v_add_f32_e32 v0, v0, v244
	s_delay_alu instid0(VALU_DEP_4)
	v_add_f32_e32 v1, v4, v1
	v_fmac_f32_e32 v11, 0x3f167918, v27
	v_fma_f32 v218, -0.5, v6, v7
	v_mul_f32_e32 v214, 0xbf737871, v20
	v_mul_f32_e32 v215, 0xbe9e377a, v20
	v_add_f32_e32 v1, v1, v245
	v_fmac_f32_e32 v211, 0x3f737871, v19
	v_fmamk_f32 v10, v28, 0xbf737871, v218
	v_dual_add_f32 v0, v0, v23 :: v_dual_fmac_f32 v11, 0x3e9e377a, v32
	s_delay_alu instid0(VALU_DEP_4) | instskip(NEXT) | instid1(VALU_DEP_3)
	v_add_f32_e32 v1, v1, v24
	v_dual_add_f32 v19, v31, v210 :: v_dual_fmac_f32 v10, 0xbf167918, v9
	v_fmac_f32_e32 v214, 0xbe9e377a, v5
	s_delay_alu instid0(VALU_DEP_4) | instskip(NEXT) | instid1(VALU_DEP_3)
	v_dual_fmac_f32 v215, 0x3f737871, v5 :: v_dual_add_f32 v4, v40, v0
	v_dual_add_f32 v5, v45, v1 :: v_dual_fmac_f32 v10, 0x3e9e377a, v18
	v_add_f32_e32 v7, v11, v207
	s_delay_alu instid0(VALU_DEP_4) | instskip(NEXT) | instid1(VALU_DEP_4)
	v_dual_add_f32 v21, v29, v214 :: v_dual_add_f32 v20, v35, v211
	v_add_f32_e32 v22, v8, v215
	s_delay_alu instid0(VALU_DEP_4)
	v_add_f32_e32 v6, v10, v206
	s_wait_loadcnt 0x0
	ds_store_b128 v14, v[4:7]
	ds_store_b128 v14, v[19:22] offset:16
	v_dual_sub_f32 v7, v45, v1 :: v_dual_fmac_f32 v218, 0x3f737871, v28
	v_dual_fmac_f32 v33, 0xbf737871, v30 :: v_dual_sub_f32 v6, v40, v0
	v_mul_f32_e32 v0, 0xbf167918, v47
	v_mul_f32_e32 v1, 0xbf4f1bbd, v47
	s_delay_alu instid0(VALU_DEP_4) | instskip(NEXT) | instid1(VALU_DEP_4)
	v_fmac_f32_e32 v218, 0x3f167918, v9
	v_fmac_f32_e32 v33, 0xbf167918, v27
	s_delay_alu instid0(VALU_DEP_4) | instskip(NEXT) | instid1(VALU_DEP_4)
	v_dual_add_f32 v15, v204, v212 :: v_dual_fmac_f32 v0, 0xbf4f1bbd, v129
	v_fmac_f32_e32 v1, 0x3f167918, v129
	s_delay_alu instid0(VALU_DEP_3) | instskip(SKIP_3) | instid1(VALU_DEP_4)
	v_dual_fmac_f32 v218, 0x3e9e377a, v18 :: v_dual_fmac_f32 v33, 0x3e9e377a, v32
	v_sub_f32_e32 v19, v10, v206
	v_sub_f32_e32 v21, v31, v210
	v_sub_f32_e32 v20, v11, v207
	v_dual_add_f32 v4, v218, v0 :: v_dual_add_f32 v5, v33, v1
	v_fma_f32 v15, -0.5, v15, v200
	v_sub_f32_e32 v22, v35, v211
	ds_store_b128 v14, v[4:7] offset:32
	ds_store_b128 v14, v[19:22] offset:48
	v_dual_sub_f32 v6, v218, v0 :: v_dual_sub_f32 v7, v33, v1
	v_add_f32_e32 v1, v201, v205
	v_sub_f32_e32 v9, v208, v216
	v_add_f32_e32 v0, v200, v204
	v_dual_sub_f32 v18, v204, v212 :: v_dual_add_f32 v19, v205, v213
	s_delay_alu instid0(VALU_DEP_4) | instskip(SKIP_1) | instid1(VALU_DEP_4)
	v_add_f32_e32 v1, v1, v209
	v_sub_f32_e32 v5, v8, v215
	v_add_f32_e32 v0, v0, v208
	v_sub_f32_e32 v8, v209, v217
	s_delay_alu instid0(VALU_DEP_4) | instskip(SKIP_1) | instid1(VALU_DEP_4)
	v_dual_add_f32 v28, v2, v246 :: v_dual_add_f32 v1, v1, v217
	v_sub_f32_e32 v30, v12, v2
	v_add_f32_e32 v0, v0, v216
	v_dual_sub_f32 v31, v2, v12 :: v_dual_add_f32 v32, v3, v247
	s_delay_alu instid0(VALU_DEP_4) | instskip(NEXT) | instid1(VALU_DEP_3)
	v_add_f32_e32 v27, v1, v213
	v_dual_add_f32 v1, v17, v13 :: v_dual_add_f32 v24, v0, v212
	v_dual_add_f32 v0, v16, v12 :: v_dual_sub_f32 v33, v2, v246
	v_sub_f32_e32 v47, v247, v26
	s_delay_alu instid0(VALU_DEP_3) | instskip(SKIP_1) | instid1(VALU_DEP_4)
	v_add_f32_e32 v1, v1, v3
	v_add_f32_e32 v35, v12, v25
	;; [unrolled: 1-line block ×3, first 2 shown]
	v_sub_f32_e32 v2, v13, v3
	s_delay_alu instid0(VALU_DEP_4) | instskip(SKIP_1) | instid1(VALU_DEP_4)
	v_dual_sub_f32 v12, v12, v25 :: v_dual_add_f32 v1, v1, v247
	v_dual_sub_f32 v4, v29, v214 :: v_dual_sub_f32 v29, v3, v247
	v_dual_sub_f32 v3, v3, v13 :: v_dual_add_f32 v0, v0, v246
	v_dual_sub_f32 v40, v25, v246 :: v_dual_sub_f32 v45, v246, v25
	v_add_f32_e32 v13, v13, v26
	v_fma_f32 v32, -0.5, v32, v17
	s_delay_alu instid0(VALU_DEP_4)
	v_dual_add_f32 v25, v0, v25 :: v_dual_add_f32 v0, v3, v47
	scratch_load_b32 v47, off, off offset:288 th:TH_LOAD_LU ; 4-byte Folded Reload
	v_dual_fmac_f32 v17, -0.5, v13 :: v_dual_sub_f32 v46, v26, v247
	v_add_f32_e32 v26, v1, v26
	ds_store_b128 v14, v[4:7] offset:64
	v_fma_f32 v3, -0.5, v35, v16
	v_fmamk_f32 v1, v33, 0xbf737871, v17
	v_fmac_f32_e32 v17, 0x3f737871, v33
	v_dual_sub_f32 v14, v205, v213 :: v_dual_sub_f32 v5, v204, v208
	v_fma_f32 v13, -0.5, v28, v16
	s_delay_alu instid0(VALU_DEP_4) | instskip(NEXT) | instid1(VALU_DEP_4)
	v_fmac_f32_e32 v1, 0x3f167918, v12
	v_dual_fmac_f32 v17, 0xbf167918, v12 :: v_dual_sub_f32 v10, v205, v209
	v_sub_f32_e32 v22, v213, v217
	s_delay_alu instid0(VALU_DEP_3) | instskip(NEXT) | instid1(VALU_DEP_3)
	v_dual_add_f32 v28, v2, v46 :: v_dual_fmac_f32 v1, 0x3e9e377a, v0
	v_fmac_f32_e32 v17, 0x3e9e377a, v0
	v_fmamk_f32 v0, v29, 0x3f737871, v3
	s_delay_alu instid0(VALU_DEP_4) | instskip(SKIP_2) | instid1(VALU_DEP_3)
	v_dual_fmac_f32 v3, 0xbf737871, v29 :: v_dual_add_f32 v10, v10, v22
	v_add_f32_e32 v22, v30, v40
	v_fmamk_f32 v2, v12, 0x3f737871, v32
	v_dual_sub_f32 v6, v208, v204 :: v_dual_fmac_f32 v3, 0x3f167918, v34
	v_dual_sub_f32 v20, v212, v216 :: v_dual_add_f32 v7, v209, v217
	s_delay_alu instid0(VALU_DEP_3) | instskip(SKIP_1) | instid1(VALU_DEP_3)
	v_dual_fmac_f32 v2, 0x3f167918, v33 :: v_dual_sub_f32 v21, v216, v212
	v_sub_f32_e32 v11, v209, v205
	v_dual_add_f32 v20, v5, v20 :: v_dual_fmamk_f32 v5, v34, 0xbf737871, v13
	s_delay_alu instid0(VALU_DEP_3) | instskip(SKIP_2) | instid1(VALU_DEP_3)
	v_dual_fmac_f32 v2, 0x3e9e377a, v28 :: v_dual_sub_f32 v23, v217, v213
	v_mul_f32_e32 v16, 0xbf737871, v17
	v_mul_f32_e32 v17, 0xbe9e377a, v17
	v_dual_fmac_f32 v5, 0xbf167918, v29 :: v_dual_mul_f32 v30, 0xbf167918, v2
	s_delay_alu instid0(VALU_DEP_1) | instskip(NEXT) | instid1(VALU_DEP_1)
	v_fmac_f32_e32 v5, 0x3e9e377a, v22
	v_mul_f32_e32 v35, 0x3f167918, v5
	s_delay_alu instid0(VALU_DEP_1)
	v_dual_fmac_f32 v30, 0x3f4f1bbd, v5 :: v_dual_fmac_f32 v35, 0x3f4f1bbd, v2
	v_add_f32_e32 v2, v6, v21
	v_fma_f32 v21, -0.5, v7, v201
	v_fmac_f32_e32 v201, -0.5, v19
	v_fmamk_f32 v19, v8, 0x3f737871, v15
	v_fmac_f32_e32 v15, 0xbf737871, v8
	s_delay_alu instid0(VALU_DEP_4) | instskip(SKIP_1) | instid1(VALU_DEP_4)
	v_fmamk_f32 v46, v18, 0x3f737871, v21
	v_fmac_f32_e32 v21, 0xbf737871, v18
	v_fmac_f32_e32 v19, 0xbf167918, v14
	s_delay_alu instid0(VALU_DEP_3) | instskip(NEXT) | instid1(VALU_DEP_3)
	v_dual_fmac_f32 v15, 0x3f167918, v14 :: v_dual_fmac_f32 v46, 0x3f167918, v9
	v_fmac_f32_e32 v21, 0xbf167918, v9
	s_delay_alu instid0(VALU_DEP_3) | instskip(NEXT) | instid1(VALU_DEP_3)
	v_fmac_f32_e32 v19, 0x3e9e377a, v2
	v_dual_fmac_f32 v15, 0x3e9e377a, v2 :: v_dual_add_f32 v2, v11, v23
	v_fmamk_f32 v11, v9, 0xbf737871, v201
	v_dual_fmac_f32 v201, 0x3f737871, v9 :: v_dual_add_f32 v4, v208, v216
	v_fmac_f32_e32 v46, 0x3e9e377a, v10
	v_fmac_f32_e32 v21, 0x3e9e377a, v10
	s_delay_alu instid0(VALU_DEP_4) | instskip(NEXT) | instid1(VALU_DEP_4)
	v_fmac_f32_e32 v11, 0x3f167918, v18
	v_fmac_f32_e32 v201, 0xbf167918, v18
	v_fma_f32 v40, -0.5, v4, v200
	v_mul_f32_e32 v23, 0xbf737871, v1
	s_delay_alu instid0(VALU_DEP_4) | instskip(NEXT) | instid1(VALU_DEP_4)
	v_fmac_f32_e32 v11, 0x3e9e377a, v2
	v_dual_fmac_f32 v201, 0x3e9e377a, v2 :: v_dual_add_f32 v2, v31, v45
	v_mul_f32_e32 v31, 0x3e9e377a, v1
	v_fmamk_f32 v45, v14, 0xbf737871, v40
	v_fmac_f32_e32 v40, 0x3f737871, v14
	v_add_f32_e32 v1, v27, v26
	v_fmac_f32_e32 v3, 0x3e9e377a, v2
	s_delay_alu instid0(VALU_DEP_4) | instskip(NEXT) | instid1(VALU_DEP_4)
	v_fmac_f32_e32 v45, 0xbf167918, v8
	v_fmac_f32_e32 v40, 0x3f167918, v8
	s_delay_alu instid0(VALU_DEP_3)
	v_fmac_f32_e32 v16, 0xbe9e377a, v3
	v_fmac_f32_e32 v17, 0x3f737871, v3
	v_dual_add_f32 v3, v46, v35 :: v_dual_fmac_f32 v0, 0xbf167918, v34
	v_fmac_f32_e32 v13, 0x3f737871, v34
	v_fmac_f32_e32 v45, 0x3e9e377a, v20
	;; [unrolled: 1-line block ×3, first 2 shown]
	v_add_f32_e32 v6, v15, v16
	v_fmac_f32_e32 v0, 0x3e9e377a, v2
	s_delay_alu instid0(VALU_DEP_4) | instskip(SKIP_1) | instid1(VALU_DEP_3)
	v_dual_fmac_f32 v13, 0x3f167918, v29 :: v_dual_add_f32 v2, v45, v30
	v_add_f32_e32 v7, v201, v17
	v_fmac_f32_e32 v31, 0x3f737871, v0
	s_delay_alu instid0(VALU_DEP_3) | instskip(SKIP_1) | instid1(VALU_DEP_3)
	v_fmac_f32_e32 v13, 0x3e9e377a, v22
	v_dual_fmac_f32 v23, 0x3e9e377a, v0 :: v_dual_add_f32 v0, v24, v25
	v_dual_add_f32 v5, v11, v31 :: v_dual_fmac_f32 v32, 0xbf737871, v12
	s_delay_alu instid0(VALU_DEP_2)
	v_add_f32_e32 v4, v19, v23
	s_wait_loadcnt 0x0
	ds_store_b128 v47, v[0:3]
	ds_store_b128 v47, v[4:7] offset:16
	v_fmac_f32_e32 v32, 0xbf167918, v33
	v_dual_sub_f32 v2, v24, v25 :: v_dual_sub_f32 v7, v11, v31
	v_sub_f32_e32 v3, v27, v26
	v_sub_f32_e32 v4, v45, v30
	s_delay_alu instid0(VALU_DEP_4) | instskip(SKIP_1) | instid1(VALU_DEP_2)
	v_fmac_f32_e32 v32, 0x3e9e377a, v28
	v_sub_f32_e32 v6, v19, v23
	v_dual_sub_f32 v5, v46, v35 :: v_dual_mul_f32 v8, 0xbf167918, v32
	s_delay_alu instid0(VALU_DEP_1) | instskip(NEXT) | instid1(VALU_DEP_1)
	v_dual_mul_f32 v9, 0xbf4f1bbd, v32 :: v_dual_fmac_f32 v8, 0xbf4f1bbd, v13
	v_dual_fmac_f32 v9, 0x3f167918, v13 :: v_dual_add_f32 v0, v40, v8
	s_delay_alu instid0(VALU_DEP_1)
	v_add_f32_e32 v1, v21, v9
	ds_store_b128 v47, v[0:3] offset:32
	ds_store_b128 v47, v[4:7] offset:48
	v_dual_sub_f32 v1, v201, v17 :: v_dual_sub_f32 v0, v15, v16
	v_dual_sub_f32 v2, v40, v8 :: v_dual_sub_f32 v3, v21, v9
	v_add_nc_u32_e32 v201, 0x3800, v128
	ds_store_b128 v47, v[0:3] offset:64
	global_wb scope:SCOPE_SE
	s_wait_dscnt 0x0
	s_barrier_signal -1
	s_barrier_wait -1
	global_inv scope:SCOPE_SE
	scratch_load_b128 v[9:12], off, off offset:272 th:TH_LOAD_LU ; 16-byte Folded Reload
	ds_load_2addr_b64 v[0:3], v233 offset0:42 offset1:123
	ds_load_2addr_b64 v[4:7], v203 offset0:84 offset1:165
	s_wait_loadcnt_dscnt 0x1
	v_mul_f32_e32 v8, v10, v1
	s_delay_alu instid0(VALU_DEP_1) | instskip(SKIP_3) | instid1(VALU_DEP_2)
	v_fmac_f32_e32 v8, v9, v0
	v_mul_f32_e32 v0, v10, v0
	s_wait_dscnt 0x0
	v_mul_f32_e32 v10, v12, v5
	v_fma_f32 v9, v9, v1, -v0
	v_mul_f32_e32 v0, v12, v4
	scratch_load_b128 v[12:15], off, off offset:256 th:TH_LOAD_LU ; 16-byte Folded Reload
	s_wait_loadcnt 0x0
	v_mul_f32_e32 v18, v13, v3
	v_mul_f32_e32 v26, v15, v7
	s_delay_alu instid0(VALU_DEP_2) | instskip(SKIP_4) | instid1(VALU_DEP_2)
	v_fmac_f32_e32 v18, v12, v2
	v_fmac_f32_e32 v10, v11, v4
	v_fma_f32 v11, v11, v5, -v0
	v_mul_f32_e32 v0, v13, v2
	v_fmac_f32_e32 v26, v14, v6
	v_fma_f32 v25, v12, v3, -v0
	v_mul_f32_e32 v0, v15, v6
	s_delay_alu instid0(VALU_DEP_1) | instskip(SKIP_4) | instid1(VALU_DEP_2)
	v_fma_f32 v27, v14, v7, -v0
	ds_load_2addr_b64 v[4:7], v224 offset0:118 offset1:199
	s_wait_dscnt 0x0
	v_mul_f32_e32 v30, v175, v5
	v_mul_f32_e32 v34, v171, v7
	v_fmac_f32_e32 v30, v174, v4
	v_add_nc_u32_e32 v202, 0x1c00, v128
	s_delay_alu instid0(VALU_DEP_3) | instskip(SKIP_3) | instid1(VALU_DEP_1)
	v_fmac_f32_e32 v34, v170, v6
	ds_load_2addr_b64 v[0:3], v202 offset0:76 offset1:157
	s_wait_dscnt 0x0
	v_mul_f32_e32 v32, v169, v3
	v_fmac_f32_e32 v32, v168, v2
	v_mul_f32_e32 v28, v173, v1
	s_delay_alu instid0(VALU_DEP_1) | instskip(SKIP_1) | instid1(VALU_DEP_1)
	v_fmac_f32_e32 v28, v172, v0
	v_mul_f32_e32 v0, v173, v0
	v_fma_f32 v29, v172, v1, -v0
	v_mul_f32_e32 v0, v175, v4
	s_delay_alu instid0(VALU_DEP_1) | instskip(SKIP_1) | instid1(VALU_DEP_1)
	v_fma_f32 v31, v174, v5, -v0
	v_mul_f32_e32 v0, v169, v2
	v_fma_f32 v33, v168, v3, -v0
	v_mul_f32_e32 v0, v171, v6
	s_delay_alu instid0(VALU_DEP_1) | instskip(SKIP_4) | instid1(VALU_DEP_1)
	v_fma_f32 v35, v170, v7, -v0
	ds_load_2addr_b64 v[4:7], v201 offset0:152 offset1:233
	s_wait_dscnt 0x0
	v_mul_f32_e32 v46, v183, v5
	v_mul_f32_e32 v131, v179, v7
	v_fmac_f32_e32 v131, v178, v6
	s_delay_alu instid0(VALU_DEP_3)
	v_fmac_f32_e32 v46, v182, v4
	v_add_nc_u32_e32 v206, 0x2000, v128
	ds_load_2addr_b64 v[0:3], v206 offset0:110 offset1:191
	s_wait_dscnt 0x0
	v_mul_f32_e32 v40, v181, v1
	v_mul_f32_e32 v129, v177, v3
	s_delay_alu instid0(VALU_DEP_1) | instskip(NEXT) | instid1(VALU_DEP_3)
	v_fmac_f32_e32 v129, v176, v2
	v_fmac_f32_e32 v40, v180, v0
	v_mul_f32_e32 v0, v181, v0
	s_delay_alu instid0(VALU_DEP_1) | instskip(SKIP_1) | instid1(VALU_DEP_1)
	v_fma_f32 v45, v180, v1, -v0
	v_mul_f32_e32 v0, v183, v4
	v_fma_f32 v47, v182, v5, -v0
	v_mul_f32_e32 v0, v177, v2
	s_delay_alu instid0(VALU_DEP_1) | instskip(SKIP_1) | instid1(VALU_DEP_1)
	v_fma_f32 v130, v176, v3, -v0
	v_mul_f32_e32 v0, v179, v6
	v_fma_f32 v168, v178, v7, -v0
	ds_load_2addr_b64 v[0:3], v232 offset0:16 offset1:97
	s_wait_dscnt 0x0
	v_mul_f32_e32 v169, v189, v1
	v_mul_f32_e32 v173, v185, v3
	s_delay_alu instid0(VALU_DEP_2) | instskip(NEXT) | instid1(VALU_DEP_2)
	v_fmac_f32_e32 v169, v188, v0
	v_dual_mul_f32 v0, v189, v0 :: v_dual_fmac_f32 v173, v184, v2
	s_delay_alu instid0(VALU_DEP_1)
	v_fma_f32 v170, v188, v1, -v0
	v_add_nc_u32_e32 v188, 0x4000, v128
	ds_load_2addr_b64 v[4:7], v188 offset0:58 offset1:139
	s_wait_dscnt 0x0
	v_mul_f32_e32 v171, v191, v5
	v_mul_f32_e32 v175, v187, v7
	s_delay_alu instid0(VALU_DEP_2) | instskip(NEXT) | instid1(VALU_DEP_2)
	v_fmac_f32_e32 v171, v190, v4
	v_dual_mul_f32 v0, v191, v4 :: v_dual_fmac_f32 v175, v186, v6
	v_add_nc_u32_e32 v191, 0xc00, v128
	s_delay_alu instid0(VALU_DEP_2) | instskip(SKIP_2) | instid1(VALU_DEP_2)
	v_fma_f32 v172, v190, v5, -v0
	v_mul_f32_e32 v0, v185, v2
	v_sub_f32_e32 v185, v9, v11
	v_fma_f32 v174, v184, v3, -v0
	v_dual_mul_f32 v0, v187, v6 :: v_dual_add_nc_u32 v187, 0x2c00, v128
	s_delay_alu instid0(VALU_DEP_1)
	v_fma_f32 v176, v186, v7, -v0
	ds_load_2addr_b64 v[0:3], v187 offset0:50 offset1:131
	ds_load_2addr_b64 v[4:7], v229 offset0:92 offset1:173
	s_wait_dscnt 0x1
	v_mul_f32_e32 v177, v197, v1
	v_mul_f32_e32 v181, v193, v3
	s_wait_dscnt 0x0
	v_mul_f32_e32 v179, v199, v5
	v_mul_f32_e32 v183, v195, v7
	v_fmac_f32_e32 v177, v196, v0
	v_dual_mul_f32 v0, v197, v0 :: v_dual_fmac_f32 v181, v192, v2
	s_delay_alu instid0(VALU_DEP_4) | instskip(NEXT) | instid1(VALU_DEP_4)
	v_fmac_f32_e32 v179, v198, v4
	v_fmac_f32_e32 v183, v194, v6
	s_delay_alu instid0(VALU_DEP_3) | instskip(SKIP_1) | instid1(VALU_DEP_1)
	v_fma_f32 v178, v196, v1, -v0
	v_mul_f32_e32 v0, v199, v4
	v_fma_f32 v180, v198, v5, -v0
	v_mul_f32_e32 v0, v193, v2
	v_dual_sub_f32 v186, v8, v10 :: v_dual_add_nc_u32 v193, 0x1000, v128
	s_delay_alu instid0(VALU_DEP_2) | instskip(SKIP_1) | instid1(VALU_DEP_1)
	v_fma_f32 v182, v192, v3, -v0
	v_mul_f32_e32 v0, v195, v6
	v_fma_f32 v184, v194, v7, -v0
	ds_load_2addr_b64 v[0:3], v128 offset1:81
	s_wait_dscnt 0x0
	v_dual_add_f32 v4, v0, v8 :: v_dual_add_f32 v5, v1, v9
	s_delay_alu instid0(VALU_DEP_1) | instskip(SKIP_1) | instid1(VALU_DEP_3)
	v_add_f32_e32 v16, v4, v10
	v_add_f32_e32 v4, v9, v11
	;; [unrolled: 1-line block ×3, first 2 shown]
	s_delay_alu instid0(VALU_DEP_2) | instskip(NEXT) | instid1(VALU_DEP_1)
	v_fma_f32 v1, -0.5, v4, v1
	v_fmamk_f32 v24, v186, 0x3f5db3d7, v1
	v_fmac_f32_e32 v1, 0xbf5db3d7, v186
	v_add_f32_e32 v5, v8, v10
	s_delay_alu instid0(VALU_DEP_1)
	v_fma_f32 v0, -0.5, v5, v0
	ds_load_2addr_b64 v[4:7], v128 offset0:162 offset1:243
	ds_load_2addr_b64 v[8:11], v225 offset0:68 offset1:149
	;; [unrolled: 1-line block ×4, first 2 shown]
	global_wb scope:SCOPE_SE
	s_wait_dscnt 0x0
	s_barrier_signal -1
	s_barrier_wait -1
	global_inv scope:SCOPE_SE
	scratch_load_b32 v190, off, off offset:528 th:TH_LOAD_LU ; 4-byte Folded Reload
	v_fmamk_f32 v23, v185, 0xbf5db3d7, v0
	v_fmac_f32_e32 v0, 0x3f5db3d7, v185
	s_wait_loadcnt 0x0
	ds_store_2addr_b64 v190, v[16:17], v[23:24] offset1:10
	scratch_load_b32 v24, off, off offset:524 th:TH_LOAD_LU ; 4-byte Folded Reload
	ds_store_b64 v190, v[0:1] offset:160
	v_add_f32_e32 v0, v18, v26
	v_dual_add_f32 v1, v2, v18 :: v_dual_add_f32 v16, v3, v25
	v_dual_sub_f32 v23, v25, v27 :: v_dual_sub_f32 v18, v18, v26
	s_delay_alu instid0(VALU_DEP_3) | instskip(NEXT) | instid1(VALU_DEP_3)
	v_fma_f32 v2, -0.5, v0, v2
	v_dual_add_f32 v0, v1, v26 :: v_dual_add_f32 v1, v16, v27
	v_add_f32_e32 v16, v25, v27
	s_delay_alu instid0(VALU_DEP_1) | instskip(NEXT) | instid1(VALU_DEP_1)
	v_dual_fmac_f32 v3, -0.5, v16 :: v_dual_fmamk_f32 v16, v23, 0xbf5db3d7, v2
	v_dual_fmac_f32 v2, 0x3f5db3d7, v23 :: v_dual_fmamk_f32 v17, v18, 0x3f5db3d7, v3
	v_fmac_f32_e32 v3, 0xbf5db3d7, v18
	scratch_load_b32 v18, off, off offset:520 th:TH_LOAD_LU ; 4-byte Folded Reload
	s_wait_loadcnt 0x1
	ds_store_b64 v24, v[2:3] offset:160
	v_add_f32_e32 v3, v29, v31
	ds_store_2addr_b64 v24, v[0:1], v[16:17] offset1:10
	v_sub_f32_e32 v17, v28, v30
	v_add_f32_e32 v1, v5, v29
	v_sub_f32_e32 v16, v29, v31
	v_fma_f32 v3, -0.5, v3, v5
	s_delay_alu instid0(VALU_DEP_3) | instskip(NEXT) | instid1(VALU_DEP_2)
	v_add_f32_e32 v1, v1, v31
	v_dual_fmamk_f32 v5, v17, 0x3f5db3d7, v3 :: v_dual_add_f32 v2, v28, v30
	v_dual_add_f32 v0, v4, v28 :: v_dual_fmac_f32 v3, 0xbf5db3d7, v17
	s_delay_alu instid0(VALU_DEP_2) | instskip(NEXT) | instid1(VALU_DEP_2)
	v_fma_f32 v2, -0.5, v2, v4
	v_add_f32_e32 v0, v0, v30
	s_delay_alu instid0(VALU_DEP_2)
	v_fmamk_f32 v4, v16, 0xbf5db3d7, v2
	v_fmac_f32_e32 v2, 0x3f5db3d7, v16
	scratch_load_b32 v16, off, off offset:516 th:TH_LOAD_LU ; 4-byte Folded Reload
	s_wait_loadcnt 0x1
	ds_store_2addr_b64 v18, v[0:1], v[4:5] offset1:10
	ds_store_b64 v18, v[2:3] offset:160
	v_dual_add_f32 v0, v32, v34 :: v_dual_add_f32 v1, v6, v32
	v_add_f32_e32 v2, v7, v33
	v_dual_sub_f32 v4, v33, v35 :: v_dual_sub_f32 v5, v32, v34
	s_delay_alu instid0(VALU_DEP_3) | instskip(NEXT) | instid1(VALU_DEP_3)
	v_fma_f32 v6, -0.5, v0, v6
	v_dual_add_f32 v0, v1, v34 :: v_dual_add_f32 v1, v2, v35
	v_add_f32_e32 v2, v33, v35
	s_delay_alu instid0(VALU_DEP_1) | instskip(NEXT) | instid1(VALU_DEP_1)
	v_dual_fmac_f32 v7, -0.5, v2 :: v_dual_fmamk_f32 v2, v4, 0xbf5db3d7, v6
	v_dual_fmac_f32 v6, 0x3f5db3d7, v4 :: v_dual_fmamk_f32 v3, v5, 0x3f5db3d7, v7
	v_fmac_f32_e32 v7, 0xbf5db3d7, v5
	s_wait_loadcnt 0x0
	ds_store_2addr_b64 v16, v[0:1], v[2:3] offset1:10
	v_add_f32_e32 v2, v40, v46
	v_add_f32_e32 v0, v8, v40
	ds_store_b64 v16, v[6:7] offset:160
	v_sub_f32_e32 v6, v45, v47
	v_add_f32_e32 v3, v45, v47
	v_fma_f32 v2, -0.5, v2, v8
	scratch_load_b32 v8, off, off offset:512 th:TH_LOAD_LU ; 4-byte Folded Reload
	v_add_f32_e32 v1, v9, v45
	v_sub_f32_e32 v7, v40, v46
	v_fma_f32 v3, -0.5, v3, v9
	v_fmamk_f32 v4, v6, 0xbf5db3d7, v2
	v_fmac_f32_e32 v2, 0x3f5db3d7, v6
	scratch_load_b32 v6, off, off offset:508 th:TH_LOAD_LU ; 4-byte Folded Reload
	v_dual_add_f32 v0, v0, v46 :: v_dual_add_f32 v1, v1, v47
	v_fmamk_f32 v5, v7, 0x3f5db3d7, v3
	v_fmac_f32_e32 v3, 0xbf5db3d7, v7
	v_sub_f32_e32 v7, v169, v171
	s_wait_loadcnt 0x1
	ds_store_2addr_b64 v8, v[0:1], v[4:5] offset1:10
	ds_store_b64 v8, v[2:3] offset:160
	v_dual_add_f32 v0, v129, v131 :: v_dual_add_f32 v1, v10, v129
	v_add_f32_e32 v2, v11, v130
	v_dual_sub_f32 v4, v130, v168 :: v_dual_sub_f32 v5, v129, v131
	s_delay_alu instid0(VALU_DEP_3) | instskip(NEXT) | instid1(VALU_DEP_3)
	v_fma_f32 v10, -0.5, v0, v10
	v_dual_add_f32 v0, v1, v131 :: v_dual_add_f32 v1, v2, v168
	v_add_f32_e32 v2, v130, v168
	scratch_load_b32 v8, off, off offset:504 th:TH_LOAD_LU ; 4-byte Folded Reload
	v_dual_fmac_f32 v11, -0.5, v2 :: v_dual_fmamk_f32 v2, v4, 0xbf5db3d7, v10
	s_delay_alu instid0(VALU_DEP_1)
	v_dual_fmac_f32 v10, 0x3f5db3d7, v4 :: v_dual_fmamk_f32 v3, v5, 0x3f5db3d7, v11
	v_fmac_f32_e32 v11, 0xbf5db3d7, v5
	s_wait_loadcnt 0x1
	ds_store_2addr_b64 v6, v[0:1], v[2:3] offset1:10
	v_add_f32_e32 v2, v169, v171
	ds_store_b64 v6, v[10:11] offset:160
	v_sub_f32_e32 v6, v170, v172
	v_dual_add_f32 v3, v170, v172 :: v_dual_add_f32 v0, v12, v169
	v_fma_f32 v2, -0.5, v2, v12
	v_add_f32_e32 v1, v13, v170
	s_delay_alu instid0(VALU_DEP_3) | instskip(NEXT) | instid1(VALU_DEP_4)
	v_fma_f32 v3, -0.5, v3, v13
	v_add_f32_e32 v0, v0, v171
	s_delay_alu instid0(VALU_DEP_4)
	v_fmamk_f32 v4, v6, 0xbf5db3d7, v2
	v_fmac_f32_e32 v2, 0x3f5db3d7, v6
	scratch_load_b32 v6, off, off offset:500 th:TH_LOAD_LU ; 4-byte Folded Reload
	v_add_f32_e32 v1, v1, v172
	v_fmamk_f32 v5, v7, 0x3f5db3d7, v3
	v_fmac_f32_e32 v3, 0xbf5db3d7, v7
	v_sub_f32_e32 v7, v177, v179
	s_wait_loadcnt 0x1
	ds_store_2addr_b64 v8, v[0:1], v[4:5] offset1:10
	ds_store_b64 v8, v[2:3] offset:160
	scratch_load_b32 v8, off, off offset:496 th:TH_LOAD_LU ; 4-byte Folded Reload
	v_dual_add_f32 v0, v173, v175 :: v_dual_add_f32 v1, v14, v173
	v_add_f32_e32 v2, v15, v174
	v_dual_sub_f32 v4, v174, v176 :: v_dual_sub_f32 v5, v173, v175
	s_delay_alu instid0(VALU_DEP_3) | instskip(NEXT) | instid1(VALU_DEP_3)
	v_fma_f32 v14, -0.5, v0, v14
	v_dual_add_f32 v0, v1, v175 :: v_dual_add_f32 v1, v2, v176
	v_add_f32_e32 v2, v174, v176
	s_delay_alu instid0(VALU_DEP_1) | instskip(NEXT) | instid1(VALU_DEP_1)
	v_dual_fmac_f32 v15, -0.5, v2 :: v_dual_fmamk_f32 v2, v4, 0xbf5db3d7, v14
	v_dual_fmac_f32 v14, 0x3f5db3d7, v4 :: v_dual_fmamk_f32 v3, v5, 0x3f5db3d7, v15
	v_fmac_f32_e32 v15, 0xbf5db3d7, v5
	s_wait_loadcnt 0x1
	ds_store_2addr_b64 v6, v[0:1], v[2:3] offset1:10
	v_add_f32_e32 v2, v177, v179
	ds_store_b64 v6, v[14:15] offset:160
	v_sub_f32_e32 v6, v178, v180
	v_dual_add_f32 v3, v178, v180 :: v_dual_add_f32 v0, v19, v177
	v_fma_f32 v2, -0.5, v2, v19
	v_add_f32_e32 v1, v20, v178
	s_delay_alu instid0(VALU_DEP_3) | instskip(NEXT) | instid1(VALU_DEP_4)
	v_fma_f32 v3, -0.5, v3, v20
	v_add_f32_e32 v0, v0, v179
	s_delay_alu instid0(VALU_DEP_4)
	v_fmamk_f32 v4, v6, 0xbf5db3d7, v2
	v_fmac_f32_e32 v2, 0x3f5db3d7, v6
	scratch_load_b32 v6, off, off offset:492 th:TH_LOAD_LU ; 4-byte Folded Reload
	v_add_f32_e32 v1, v1, v180
	v_fmamk_f32 v5, v7, 0x3f5db3d7, v3
	v_fmac_f32_e32 v3, 0xbf5db3d7, v7
	s_wait_loadcnt 0x1
	ds_store_2addr_b64 v8, v[0:1], v[4:5] offset1:10
	ds_store_b64 v8, v[2:3] offset:160
	v_add_f32_e32 v0, v181, v183
	v_dual_add_f32 v1, v21, v181 :: v_dual_add_f32 v2, v22, v182
	v_dual_sub_f32 v4, v182, v184 :: v_dual_sub_f32 v5, v181, v183
	s_delay_alu instid0(VALU_DEP_3) | instskip(NEXT) | instid1(VALU_DEP_3)
	v_fma_f32 v21, -0.5, v0, v21
	v_dual_add_f32 v0, v1, v183 :: v_dual_add_f32 v1, v2, v184
	v_add_f32_e32 v2, v182, v184
	s_delay_alu instid0(VALU_DEP_1) | instskip(NEXT) | instid1(VALU_DEP_4)
	v_fmac_f32_e32 v22, -0.5, v2
	v_fmamk_f32 v2, v4, 0xbf5db3d7, v21
	v_fmac_f32_e32 v21, 0x3f5db3d7, v4
	s_delay_alu instid0(VALU_DEP_3)
	v_fmamk_f32 v3, v5, 0x3f5db3d7, v22
	v_fmac_f32_e32 v22, 0xbf5db3d7, v5
	s_wait_loadcnt 0x0
	ds_store_2addr_b64 v6, v[0:1], v[2:3] offset1:10
	ds_store_b64 v6, v[21:22] offset:160
	global_wb scope:SCOPE_SE
	s_wait_dscnt 0x0
	s_barrier_signal -1
	s_barrier_wait -1
	global_inv scope:SCOPE_SE
	ds_load_2addr_b64 v[0:3], v233 offset0:42 offset1:123
	ds_load_2addr_b64 v[4:7], v203 offset0:84 offset1:165
	s_wait_dscnt 0x1
	v_mul_f32_e32 v8, v133, v1
	v_mul_f32_e32 v18, v105, v3
	s_wait_dscnt 0x0
	v_mul_f32_e32 v10, v135, v5
	v_mul_f32_e32 v26, v107, v7
	v_fmac_f32_e32 v8, v132, v0
	v_mul_f32_e32 v0, v133, v0
	v_fmac_f32_e32 v18, v104, v2
	v_fmac_f32_e32 v10, v134, v4
	;; [unrolled: 1-line block ×3, first 2 shown]
	s_delay_alu instid0(VALU_DEP_4) | instskip(SKIP_1) | instid1(VALU_DEP_1)
	v_fma_f32 v9, v132, v1, -v0
	v_mul_f32_e32 v0, v135, v4
	v_fma_f32 v11, v134, v5, -v0
	v_mul_f32_e32 v0, v105, v2
	s_delay_alu instid0(VALU_DEP_1) | instskip(SKIP_1) | instid1(VALU_DEP_1)
	v_fma_f32 v25, v104, v3, -v0
	v_mul_f32_e32 v0, v107, v6
	v_fma_f32 v27, v106, v7, -v0
	ds_load_2addr_b64 v[0:3], v202 offset0:76 offset1:157
	ds_load_2addr_b64 v[4:7], v224 offset0:118 offset1:199
	s_wait_dscnt 0x1
	v_mul_f32_e32 v28, v141, v1
	v_mul_f32_e32 v32, v137, v3
	s_wait_dscnt 0x0
	v_mul_f32_e32 v30, v143, v5
	v_mul_f32_e32 v34, v139, v7
	v_fmac_f32_e32 v28, v140, v0
	v_mul_f32_e32 v0, v141, v0
	v_fmac_f32_e32 v32, v136, v2
	v_fmac_f32_e32 v30, v142, v4
	;; [unrolled: 1-line block ×3, first 2 shown]
	s_delay_alu instid0(VALU_DEP_4) | instskip(SKIP_1) | instid1(VALU_DEP_1)
	v_fma_f32 v29, v140, v1, -v0
	v_mul_f32_e32 v0, v143, v4
	v_fma_f32 v31, v142, v5, -v0
	v_mul_f32_e32 v0, v137, v2
	s_delay_alu instid0(VALU_DEP_1) | instskip(SKIP_1) | instid1(VALU_DEP_1)
	v_fma_f32 v33, v136, v3, -v0
	v_mul_f32_e32 v0, v139, v6
	v_fma_f32 v35, v138, v7, -v0
	ds_load_2addr_b64 v[0:3], v206 offset0:110 offset1:191
	ds_load_2addr_b64 v[4:7], v201 offset0:152 offset1:233
	s_wait_dscnt 0x1
	v_mul_f32_e32 v40, v149, v1
	v_mul_f32_e32 v104, v145, v3
	s_wait_dscnt 0x0
	v_mul_f32_e32 v46, v151, v5
	v_mul_f32_e32 v106, v147, v7
	v_fmac_f32_e32 v40, v148, v0
	v_mul_f32_e32 v0, v149, v0
	v_fmac_f32_e32 v104, v144, v2
	v_fmac_f32_e32 v46, v150, v4
	;; [unrolled: 1-line block ×3, first 2 shown]
	s_delay_alu instid0(VALU_DEP_4) | instskip(SKIP_1) | instid1(VALU_DEP_1)
	v_fma_f32 v45, v148, v1, -v0
	v_mul_f32_e32 v0, v151, v4
	v_fma_f32 v47, v150, v5, -v0
	v_mul_f32_e32 v0, v145, v2
	v_sub_f32_e32 v145, v9, v11
	s_delay_alu instid0(VALU_DEP_2) | instskip(SKIP_1) | instid1(VALU_DEP_1)
	v_fma_f32 v105, v144, v3, -v0
	v_mul_f32_e32 v0, v147, v6
	v_fma_f32 v107, v146, v7, -v0
	ds_load_2addr_b64 v[0:3], v232 offset0:16 offset1:97
	ds_load_2addr_b64 v[4:7], v188 offset0:58 offset1:139
	s_wait_dscnt 0x1
	v_dual_sub_f32 v146, v8, v10 :: v_dual_mul_f32 v129, v157, v1
	v_mul_f32_e32 v133, v153, v3
	s_wait_dscnt 0x0
	v_mul_f32_e32 v131, v159, v5
	v_mul_f32_e32 v135, v155, v7
	v_fmac_f32_e32 v129, v156, v0
	v_dual_mul_f32 v0, v157, v0 :: v_dual_fmac_f32 v133, v152, v2
	s_delay_alu instid0(VALU_DEP_4) | instskip(NEXT) | instid1(VALU_DEP_4)
	v_fmac_f32_e32 v131, v158, v4
	v_fmac_f32_e32 v135, v154, v6
	s_delay_alu instid0(VALU_DEP_3) | instskip(SKIP_1) | instid1(VALU_DEP_1)
	v_fma_f32 v130, v156, v1, -v0
	v_mul_f32_e32 v0, v159, v4
	v_fma_f32 v132, v158, v5, -v0
	v_mul_f32_e32 v0, v153, v2
	s_delay_alu instid0(VALU_DEP_1) | instskip(SKIP_1) | instid1(VALU_DEP_1)
	v_fma_f32 v134, v152, v3, -v0
	v_mul_f32_e32 v0, v155, v6
	v_fma_f32 v136, v154, v7, -v0
	ds_load_2addr_b64 v[0:3], v187 offset0:50 offset1:131
	ds_load_2addr_b64 v[4:7], v229 offset0:92 offset1:173
	s_wait_dscnt 0x1
	v_mul_f32_e32 v137, v165, v1
	v_mul_f32_e32 v141, v161, v3
	s_wait_dscnt 0x0
	v_mul_f32_e32 v139, v167, v5
	v_mul_f32_e32 v143, v163, v7
	v_fmac_f32_e32 v137, v164, v0
	v_dual_mul_f32 v0, v165, v0 :: v_dual_fmac_f32 v141, v160, v2
	s_delay_alu instid0(VALU_DEP_4) | instskip(NEXT) | instid1(VALU_DEP_4)
	v_fmac_f32_e32 v139, v166, v4
	v_fmac_f32_e32 v143, v162, v6
	s_delay_alu instid0(VALU_DEP_3) | instskip(SKIP_1) | instid1(VALU_DEP_1)
	v_fma_f32 v138, v164, v1, -v0
	v_mul_f32_e32 v0, v167, v4
	v_fma_f32 v140, v166, v5, -v0
	v_mul_f32_e32 v0, v161, v2
	s_delay_alu instid0(VALU_DEP_1) | instskip(SKIP_1) | instid1(VALU_DEP_1)
	v_fma_f32 v142, v160, v3, -v0
	v_mul_f32_e32 v0, v163, v6
	v_fma_f32 v144, v162, v7, -v0
	ds_load_2addr_b64 v[0:3], v128 offset1:81
	s_wait_dscnt 0x0
	v_dual_add_f32 v4, v0, v8 :: v_dual_add_f32 v5, v1, v9
	s_delay_alu instid0(VALU_DEP_1) | instskip(SKIP_1) | instid1(VALU_DEP_1)
	v_dual_add_f32 v16, v4, v10 :: v_dual_add_f32 v17, v5, v11
	v_dual_add_f32 v4, v9, v11 :: v_dual_add_f32 v5, v8, v10
	v_fma_f32 v1, -0.5, v4, v1
	s_delay_alu instid0(VALU_DEP_2)
	v_fma_f32 v0, -0.5, v5, v0
	ds_load_2addr_b64 v[4:7], v128 offset0:162 offset1:243
	ds_load_2addr_b64 v[8:11], v225 offset0:68 offset1:149
	;; [unrolled: 1-line block ×4, first 2 shown]
	global_wb scope:SCOPE_SE
	s_wait_dscnt 0x0
	s_barrier_signal -1
	s_barrier_wait -1
	global_inv scope:SCOPE_SE
	scratch_load_b32 v150, off, off offset:488 th:TH_LOAD_LU ; 4-byte Folded Reload
	v_fmamk_f32 v23, v145, 0xbf5db3d7, v0
	v_fmamk_f32 v24, v146, 0x3f5db3d7, v1
	v_fmac_f32_e32 v0, 0x3f5db3d7, v145
	v_fmac_f32_e32 v1, 0xbf5db3d7, v146
	s_wait_loadcnt 0x0
	ds_store_2addr_b64 v150, v[16:17], v[23:24] offset1:30
	scratch_load_b32 v24, off, off offset:484 th:TH_LOAD_LU ; 4-byte Folded Reload
	ds_store_b64 v150, v[0:1] offset:480
	v_add_f32_e32 v0, v18, v26
	v_dual_add_f32 v1, v2, v18 :: v_dual_add_f32 v16, v3, v25
	v_dual_sub_f32 v18, v18, v26 :: v_dual_sub_f32 v23, v25, v27
	s_delay_alu instid0(VALU_DEP_3) | instskip(NEXT) | instid1(VALU_DEP_3)
	v_fma_f32 v2, -0.5, v0, v2
	v_dual_add_f32 v0, v1, v26 :: v_dual_add_f32 v1, v16, v27
	v_add_f32_e32 v16, v25, v27
	s_delay_alu instid0(VALU_DEP_1) | instskip(NEXT) | instid1(VALU_DEP_1)
	v_dual_fmac_f32 v3, -0.5, v16 :: v_dual_fmamk_f32 v16, v23, 0xbf5db3d7, v2
	v_dual_fmac_f32 v2, 0x3f5db3d7, v23 :: v_dual_fmamk_f32 v17, v18, 0x3f5db3d7, v3
	v_fmac_f32_e32 v3, 0xbf5db3d7, v18
	scratch_load_b32 v18, off, off offset:480 th:TH_LOAD_LU ; 4-byte Folded Reload
	s_wait_loadcnt 0x1
	ds_store_b64 v24, v[2:3] offset:480
	v_add_f32_e32 v2, v28, v30
	ds_store_2addr_b64 v24, v[0:1], v[16:17] offset1:30
	v_sub_f32_e32 v16, v29, v31
	v_dual_add_f32 v0, v4, v28 :: v_dual_add_f32 v3, v29, v31
	v_fma_f32 v2, -0.5, v2, v4
	v_add_f32_e32 v1, v5, v29
	v_sub_f32_e32 v17, v28, v30
	s_delay_alu instid0(VALU_DEP_4)
	v_add_f32_e32 v0, v0, v30
	v_fma_f32 v3, -0.5, v3, v5
	v_fmamk_f32 v4, v16, 0xbf5db3d7, v2
	v_fmac_f32_e32 v2, 0x3f5db3d7, v16
	scratch_load_b32 v16, off, off offset:476 th:TH_LOAD_LU ; 4-byte Folded Reload
	v_add_f32_e32 v1, v1, v31
	v_fmamk_f32 v5, v17, 0x3f5db3d7, v3
	v_fmac_f32_e32 v3, 0xbf5db3d7, v17
	s_wait_loadcnt 0x1
	ds_store_2addr_b64 v18, v[0:1], v[4:5] offset1:30
	ds_store_b64 v18, v[2:3] offset:480
	v_dual_add_f32 v0, v32, v34 :: v_dual_add_f32 v1, v6, v32
	v_add_f32_e32 v2, v7, v33
	v_dual_sub_f32 v4, v33, v35 :: v_dual_sub_f32 v5, v32, v34
	s_delay_alu instid0(VALU_DEP_3) | instskip(NEXT) | instid1(VALU_DEP_3)
	v_fma_f32 v6, -0.5, v0, v6
	v_dual_add_f32 v0, v1, v34 :: v_dual_add_f32 v1, v2, v35
	v_add_f32_e32 v2, v33, v35
	s_delay_alu instid0(VALU_DEP_1) | instskip(NEXT) | instid1(VALU_DEP_1)
	v_dual_fmac_f32 v7, -0.5, v2 :: v_dual_fmamk_f32 v2, v4, 0xbf5db3d7, v6
	v_dual_fmac_f32 v6, 0x3f5db3d7, v4 :: v_dual_fmamk_f32 v3, v5, 0x3f5db3d7, v7
	v_fmac_f32_e32 v7, 0xbf5db3d7, v5
	s_wait_loadcnt 0x0
	ds_store_2addr_b64 v16, v[0:1], v[2:3] offset1:30
	v_add_f32_e32 v2, v40, v46
	v_add_f32_e32 v0, v8, v40
	ds_store_b64 v16, v[6:7] offset:480
	v_sub_f32_e32 v6, v45, v47
	v_add_f32_e32 v3, v45, v47
	v_fma_f32 v2, -0.5, v2, v8
	scratch_load_b32 v8, off, off offset:472 th:TH_LOAD_LU ; 4-byte Folded Reload
	v_add_f32_e32 v1, v9, v45
	v_sub_f32_e32 v7, v40, v46
	v_fma_f32 v3, -0.5, v3, v9
	v_fmamk_f32 v4, v6, 0xbf5db3d7, v2
	v_fmac_f32_e32 v2, 0x3f5db3d7, v6
	scratch_load_b32 v6, off, off offset:468 th:TH_LOAD_LU ; 4-byte Folded Reload
	v_dual_add_f32 v0, v0, v46 :: v_dual_add_f32 v1, v1, v47
	v_fmamk_f32 v5, v7, 0x3f5db3d7, v3
	v_fmac_f32_e32 v3, 0xbf5db3d7, v7
	v_sub_f32_e32 v7, v129, v131
	s_wait_loadcnt 0x1
	ds_store_2addr_b64 v8, v[0:1], v[4:5] offset1:30
	ds_store_b64 v8, v[2:3] offset:480
	v_dual_add_f32 v0, v104, v106 :: v_dual_add_f32 v1, v10, v104
	v_add_f32_e32 v2, v11, v105
	v_dual_sub_f32 v4, v105, v107 :: v_dual_sub_f32 v5, v104, v106
	s_delay_alu instid0(VALU_DEP_3) | instskip(NEXT) | instid1(VALU_DEP_3)
	v_fma_f32 v10, -0.5, v0, v10
	v_dual_add_f32 v0, v1, v106 :: v_dual_add_f32 v1, v2, v107
	v_add_f32_e32 v2, v105, v107
	scratch_load_b32 v8, off, off offset:448 th:TH_LOAD_LU ; 4-byte Folded Reload
	v_dual_fmac_f32 v11, -0.5, v2 :: v_dual_fmamk_f32 v2, v4, 0xbf5db3d7, v10
	s_delay_alu instid0(VALU_DEP_1)
	v_dual_fmac_f32 v10, 0x3f5db3d7, v4 :: v_dual_fmamk_f32 v3, v5, 0x3f5db3d7, v11
	v_fmac_f32_e32 v11, 0xbf5db3d7, v5
	s_wait_loadcnt 0x1
	ds_store_2addr_b64 v6, v[0:1], v[2:3] offset1:30
	v_add_f32_e32 v2, v129, v131
	ds_store_b64 v6, v[10:11] offset:480
	v_sub_f32_e32 v6, v130, v132
	v_dual_add_f32 v0, v13, v130 :: v_dual_add_f32 v3, v130, v132
	v_fma_f32 v2, -0.5, v2, v12
	s_delay_alu instid0(VALU_DEP_2) | instskip(SKIP_1) | instid1(VALU_DEP_3)
	v_add_f32_e32 v1, v0, v132
	v_add_f32_e32 v0, v12, v129
	v_fmamk_f32 v4, v6, 0xbf5db3d7, v2
	v_fmac_f32_e32 v2, 0x3f5db3d7, v6
	scratch_load_b32 v6, off, off offset:444 th:TH_LOAD_LU ; 4-byte Folded Reload
	v_fma_f32 v3, -0.5, v3, v13
	s_delay_alu instid0(VALU_DEP_1)
	v_dual_add_f32 v0, v0, v131 :: v_dual_fmamk_f32 v5, v7, 0x3f5db3d7, v3
	v_fmac_f32_e32 v3, 0xbf5db3d7, v7
	v_sub_f32_e32 v7, v137, v139
	s_wait_loadcnt 0x1
	ds_store_2addr_b64 v8, v[0:1], v[4:5] offset1:30
	v_add_f32_e32 v0, v133, v135
	ds_store_b64 v8, v[2:3] offset:480
	v_dual_add_f32 v2, v14, v133 :: v_dual_add_f32 v1, v15, v134
	v_sub_f32_e32 v4, v134, v136
	v_fma_f32 v14, -0.5, v0, v14
	v_dual_add_f32 v0, v134, v136 :: v_dual_sub_f32 v5, v133, v135
	scratch_load_b32 v8, off, off offset:440 th:TH_LOAD_LU ; 4-byte Folded Reload
	v_add_f32_e32 v1, v1, v136
	v_dual_fmac_f32 v15, -0.5, v0 :: v_dual_add_f32 v0, v2, v135
	v_fmamk_f32 v2, v4, 0xbf5db3d7, v14
	s_delay_alu instid0(VALU_DEP_2)
	v_dual_fmac_f32 v14, 0x3f5db3d7, v4 :: v_dual_fmamk_f32 v3, v5, 0x3f5db3d7, v15
	v_fmac_f32_e32 v15, 0xbf5db3d7, v5
	s_wait_loadcnt 0x1
	ds_store_2addr_b64 v6, v[0:1], v[2:3] offset1:30
	v_add_f32_e32 v2, v137, v139
	ds_store_b64 v6, v[14:15] offset:480
	v_sub_f32_e32 v6, v138, v140
	v_dual_add_f32 v3, v138, v140 :: v_dual_add_f32 v0, v19, v137
	v_fma_f32 v2, -0.5, v2, v19
	v_add_f32_e32 v1, v20, v138
	s_delay_alu instid0(VALU_DEP_3) | instskip(NEXT) | instid1(VALU_DEP_4)
	v_fma_f32 v3, -0.5, v3, v20
	v_add_f32_e32 v0, v0, v139
	s_delay_alu instid0(VALU_DEP_4)
	v_fmamk_f32 v4, v6, 0xbf5db3d7, v2
	v_fmac_f32_e32 v2, 0x3f5db3d7, v6
	scratch_load_b32 v6, off, off offset:436 th:TH_LOAD_LU ; 4-byte Folded Reload
	v_add_f32_e32 v1, v1, v140
	v_fmamk_f32 v5, v7, 0x3f5db3d7, v3
	v_fmac_f32_e32 v3, 0xbf5db3d7, v7
	s_wait_loadcnt 0x1
	ds_store_2addr_b64 v8, v[0:1], v[4:5] offset1:30
	ds_store_b64 v8, v[2:3] offset:480
	v_add_f32_e32 v0, v141, v143
	v_dual_add_f32 v1, v21, v141 :: v_dual_add_f32 v2, v22, v142
	v_dual_sub_f32 v4, v142, v144 :: v_dual_sub_f32 v5, v141, v143
	s_delay_alu instid0(VALU_DEP_3) | instskip(NEXT) | instid1(VALU_DEP_3)
	v_fma_f32 v21, -0.5, v0, v21
	v_dual_add_f32 v0, v1, v143 :: v_dual_add_f32 v1, v2, v144
	v_add_f32_e32 v2, v142, v144
	s_delay_alu instid0(VALU_DEP_1) | instskip(NEXT) | instid1(VALU_DEP_4)
	v_fmac_f32_e32 v22, -0.5, v2
	v_fmamk_f32 v2, v4, 0xbf5db3d7, v21
	v_fmac_f32_e32 v21, 0x3f5db3d7, v4
	s_delay_alu instid0(VALU_DEP_3)
	v_fmamk_f32 v3, v5, 0x3f5db3d7, v22
	v_fmac_f32_e32 v22, 0xbf5db3d7, v5
	s_wait_loadcnt 0x0
	ds_store_2addr_b64 v6, v[0:1], v[2:3] offset1:30
	ds_store_b64 v6, v[21:22] offset:480
	global_wb scope:SCOPE_SE
	s_wait_dscnt 0x0
	s_barrier_signal -1
	s_barrier_wait -1
	global_inv scope:SCOPE_SE
	ds_load_2addr_b64 v[0:3], v233 offset0:42 offset1:123
	ds_load_2addr_b64 v[4:7], v203 offset0:84 offset1:165
	s_wait_dscnt 0x1
	v_mul_f32_e32 v8, v89, v1
	v_mul_f32_e32 v18, v69, v3
	s_wait_dscnt 0x0
	v_mul_f32_e32 v10, v91, v5
	v_mul_f32_e32 v26, v71, v7
	v_fmac_f32_e32 v8, v88, v0
	v_mul_f32_e32 v0, v89, v0
	v_fmac_f32_e32 v18, v68, v2
	v_fmac_f32_e32 v10, v90, v4
	;; [unrolled: 1-line block ×3, first 2 shown]
	s_delay_alu instid0(VALU_DEP_4) | instskip(SKIP_1) | instid1(VALU_DEP_1)
	v_fma_f32 v9, v88, v1, -v0
	v_mul_f32_e32 v0, v91, v4
	v_fma_f32 v11, v90, v5, -v0
	v_mul_f32_e32 v0, v69, v2
	v_sub_f32_e32 v69, v8, v10
	s_delay_alu instid0(VALU_DEP_2) | instskip(SKIP_1) | instid1(VALU_DEP_1)
	v_fma_f32 v25, v68, v3, -v0
	v_mul_f32_e32 v0, v71, v6
	v_fma_f32 v27, v70, v7, -v0
	ds_load_2addr_b64 v[0:3], v202 offset0:76 offset1:157
	ds_load_2addr_b64 v[4:7], v224 offset0:118 offset1:199
	s_wait_dscnt 0x1
	v_mul_f32_e32 v28, v85, v1
	v_mul_f32_e32 v32, v61, v3
	s_wait_dscnt 0x0
	v_mul_f32_e32 v30, v87, v5
	v_mul_f32_e32 v34, v63, v7
	v_fmac_f32_e32 v28, v84, v0
	v_mul_f32_e32 v0, v85, v0
	v_fmac_f32_e32 v32, v60, v2
	v_fmac_f32_e32 v30, v86, v4
	;; [unrolled: 1-line block ×3, first 2 shown]
	s_delay_alu instid0(VALU_DEP_4) | instskip(SKIP_1) | instid1(VALU_DEP_1)
	v_fma_f32 v29, v84, v1, -v0
	v_mul_f32_e32 v0, v87, v4
	v_fma_f32 v31, v86, v5, -v0
	v_mul_f32_e32 v0, v61, v2
	s_delay_alu instid0(VALU_DEP_1) | instskip(SKIP_1) | instid1(VALU_DEP_1)
	v_fma_f32 v33, v60, v3, -v0
	v_mul_f32_e32 v0, v63, v6
	v_fma_f32 v35, v62, v7, -v0
	ds_load_2addr_b64 v[0:3], v206 offset0:110 offset1:191
	ds_load_2addr_b64 v[4:7], v201 offset0:152 offset1:233
	s_wait_dscnt 0x1
	v_mul_f32_e32 v40, v81, v1
	v_mul_f32_e32 v60, v57, v3
	s_wait_dscnt 0x0
	v_mul_f32_e32 v46, v83, v5
	s_delay_alu instid0(VALU_DEP_3) | instskip(SKIP_2) | instid1(VALU_DEP_4)
	v_fmac_f32_e32 v40, v80, v0
	v_mul_f32_e32 v0, v81, v0
	v_fmac_f32_e32 v60, v56, v2
	v_fmac_f32_e32 v46, v82, v4
	s_delay_alu instid0(VALU_DEP_3) | instskip(SKIP_1) | instid1(VALU_DEP_1)
	v_fma_f32 v45, v80, v1, -v0
	v_mul_f32_e32 v0, v83, v4
	v_fma_f32 v47, v82, v5, -v0
	v_dual_mul_f32 v0, v57, v2 :: v_dual_mul_f32 v57, v59, v7
	s_delay_alu instid0(VALU_DEP_1) | instskip(SKIP_1) | instid1(VALU_DEP_3)
	v_fma_f32 v56, v56, v3, -v0
	v_mul_f32_e32 v0, v59, v6
	v_fmac_f32_e32 v57, v58, v6
	s_delay_alu instid0(VALU_DEP_2)
	v_fma_f32 v58, v58, v7, -v0
	ds_load_2addr_b64 v[0:3], v232 offset0:16 offset1:97
	ds_load_2addr_b64 v[4:7], v188 offset0:58 offset1:139
	s_wait_dscnt 0x1
	v_mul_f32_e32 v59, v73, v1
	v_mul_f32_e32 v68, v53, v3
	s_wait_dscnt 0x0
	s_delay_alu instid0(VALU_DEP_2) | instskip(SKIP_1) | instid1(VALU_DEP_3)
	v_dual_mul_f32 v62, v75, v5 :: v_dual_fmac_f32 v59, v72, v0
	v_mul_f32_e32 v0, v73, v0
	v_fmac_f32_e32 v68, v52, v2
	s_delay_alu instid0(VALU_DEP_3) | instskip(NEXT) | instid1(VALU_DEP_3)
	v_fmac_f32_e32 v62, v74, v4
	v_fma_f32 v61, v72, v1, -v0
	v_mul_f32_e32 v0, v75, v4
	s_delay_alu instid0(VALU_DEP_1) | instskip(SKIP_1) | instid1(VALU_DEP_1)
	v_fma_f32 v63, v74, v5, -v0
	v_dual_mul_f32 v0, v53, v2 :: v_dual_mul_f32 v53, v55, v7
	v_fma_f32 v52, v52, v3, -v0
	v_mul_f32_e32 v0, v55, v6
	s_delay_alu instid0(VALU_DEP_3) | instskip(NEXT) | instid1(VALU_DEP_2)
	v_fmac_f32_e32 v53, v54, v6
	v_fma_f32 v54, v54, v7, -v0
	ds_load_2addr_b64 v[0:3], v187 offset0:50 offset1:131
	ds_load_2addr_b64 v[4:7], v229 offset0:92 offset1:173
	s_wait_dscnt 0x1
	v_mul_f32_e32 v55, v65, v1
	s_delay_alu instid0(VALU_DEP_1) | instskip(SKIP_2) | instid1(VALU_DEP_1)
	v_fmac_f32_e32 v55, v64, v0
	s_wait_dscnt 0x0
	v_dual_mul_f32 v0, v65, v0 :: v_dual_mul_f32 v65, v67, v5
	v_fma_f32 v64, v64, v1, -v0
	v_mul_f32_e32 v0, v67, v4
	s_delay_alu instid0(VALU_DEP_3) | instskip(SKIP_1) | instid1(VALU_DEP_3)
	v_fmac_f32_e32 v65, v66, v4
	v_mul_f32_e32 v67, v49, v3
	v_fma_f32 v66, v66, v5, -v0
	v_mul_f32_e32 v0, v49, v2
	s_delay_alu instid0(VALU_DEP_3) | instskip(SKIP_2) | instid1(VALU_DEP_4)
	v_fmac_f32_e32 v67, v48, v2
	v_mul_f32_e32 v49, v51, v7
	v_add_f32_e32 v5, v9, v11
	v_fma_f32 v48, v48, v3, -v0
	v_mul_f32_e32 v0, v51, v6
	s_delay_alu instid0(VALU_DEP_4) | instskip(SKIP_1) | instid1(VALU_DEP_3)
	v_fmac_f32_e32 v49, v50, v6
	v_sub_f32_e32 v51, v9, v11
	v_fma_f32 v50, v50, v7, -v0
	ds_load_2addr_b64 v[0:3], v128 offset1:81
	s_wait_dscnt 0x0
	v_add_f32_e32 v4, v1, v9
	v_fma_f32 v1, -0.5, v5, v1
	s_delay_alu instid0(VALU_DEP_2) | instskip(SKIP_1) | instid1(VALU_DEP_3)
	v_add_f32_e32 v17, v4, v11
	v_add_f32_e32 v4, v0, v8
	v_fmamk_f32 v24, v69, 0x3f5db3d7, v1
	s_delay_alu instid0(VALU_DEP_2) | instskip(SKIP_1) | instid1(VALU_DEP_1)
	v_dual_fmac_f32 v1, 0xbf5db3d7, v69 :: v_dual_add_f32 v16, v4, v10
	v_add_f32_e32 v4, v8, v10
	v_fma_f32 v0, -0.5, v4, v0
	ds_load_2addr_b64 v[4:7], v128 offset0:162 offset1:243
	ds_load_2addr_b64 v[8:11], v225 offset0:68 offset1:149
	;; [unrolled: 1-line block ×4, first 2 shown]
	global_wb scope:SCOPE_SE
	s_wait_dscnt 0x0
	s_barrier_signal -1
	s_barrier_wait -1
	v_fmamk_f32 v23, v51, 0xbf5db3d7, v0
	global_inv scope:SCOPE_SE
	v_fmac_f32_e32 v0, 0x3f5db3d7, v51
	ds_store_2addr_b64 v128, v[16:17], v[23:24] offset1:90
	scratch_load_b32 v24, off, off offset:336 th:TH_LOAD_LU ; 4-byte Folded Reload
	ds_store_b64 v128, v[0:1] offset:1440
	v_dual_add_f32 v0, v18, v26 :: v_dual_add_f32 v17, v25, v27
	v_dual_add_f32 v16, v2, v18 :: v_dual_sub_f32 v23, v25, v27
	v_sub_f32_e32 v18, v18, v26
	s_delay_alu instid0(VALU_DEP_3) | instskip(SKIP_2) | instid1(VALU_DEP_2)
	v_fma_f32 v2, -0.5, v0, v2
	v_add_f32_e32 v0, v3, v25
	v_fmac_f32_e32 v3, -0.5, v17
	v_add_f32_e32 v1, v0, v27
	v_add_f32_e32 v0, v16, v26
	v_fmamk_f32 v16, v23, 0xbf5db3d7, v2
	s_delay_alu instid0(VALU_DEP_4)
	v_dual_fmamk_f32 v17, v18, 0x3f5db3d7, v3 :: v_dual_fmac_f32 v2, 0x3f5db3d7, v23
	v_fmac_f32_e32 v3, 0xbf5db3d7, v18
	scratch_load_b32 v18, off, off offset:332 th:TH_LOAD_LU ; 4-byte Folded Reload
	s_wait_loadcnt 0x1
	ds_store_b64 v24, v[2:3] offset:1440
	v_add_f32_e32 v2, v28, v30
	ds_store_2addr_b64 v24, v[0:1], v[16:17] offset1:90
	v_add_f32_e32 v0, v5, v29
	v_sub_f32_e32 v16, v29, v31
	v_add_f32_e32 v3, v29, v31
	v_fma_f32 v2, -0.5, v2, v4
	v_sub_f32_e32 v17, v28, v30
	v_add_f32_e32 v1, v0, v31
	v_add_f32_e32 v0, v4, v28
	v_fma_f32 v3, -0.5, v3, v5
	v_fmamk_f32 v4, v16, 0xbf5db3d7, v2
	v_fmac_f32_e32 v2, 0x3f5db3d7, v16
	scratch_load_b32 v16, off, off offset:328 th:TH_LOAD_LU ; 4-byte Folded Reload
	v_dual_add_f32 v0, v0, v30 :: v_dual_fmamk_f32 v5, v17, 0x3f5db3d7, v3
	v_fmac_f32_e32 v3, 0xbf5db3d7, v17
	s_wait_loadcnt 0x1
	ds_store_2addr_b64 v18, v[0:1], v[4:5] offset1:90
	ds_store_b64 v18, v[2:3] offset:1440
	v_dual_add_f32 v0, v32, v34 :: v_dual_add_f32 v3, v33, v35
	v_add_f32_e32 v2, v6, v32
	v_dual_sub_f32 v4, v33, v35 :: v_dual_sub_f32 v5, v32, v34
	s_delay_alu instid0(VALU_DEP_3) | instskip(NEXT) | instid1(VALU_DEP_4)
	v_fma_f32 v6, -0.5, v0, v6
	v_dual_add_f32 v0, v7, v33 :: v_dual_fmac_f32 v7, -0.5, v3
	s_delay_alu instid0(VALU_DEP_1) | instskip(NEXT) | instid1(VALU_DEP_3)
	v_dual_add_f32 v1, v0, v35 :: v_dual_add_f32 v0, v2, v34
	v_fmamk_f32 v2, v4, 0xbf5db3d7, v6
	s_delay_alu instid0(VALU_DEP_3)
	v_dual_fmamk_f32 v3, v5, 0x3f5db3d7, v7 :: v_dual_fmac_f32 v6, 0x3f5db3d7, v4
	v_fmac_f32_e32 v7, 0xbf5db3d7, v5
	s_wait_loadcnt 0x0
	ds_store_2addr_b64 v16, v[0:1], v[2:3] offset1:90
	v_add_f32_e32 v0, v9, v45
	v_add_f32_e32 v2, v40, v46
	ds_store_b64 v16, v[6:7] offset:1440
	v_sub_f32_e32 v6, v45, v47
	v_add_f32_e32 v3, v45, v47
	v_add_f32_e32 v1, v0, v47
	;; [unrolled: 1-line block ×3, first 2 shown]
	v_fma_f32 v2, -0.5, v2, v8
	scratch_load_b32 v8, off, off offset:324 th:TH_LOAD_LU ; 4-byte Folded Reload
	v_fma_f32 v3, -0.5, v3, v9
	v_sub_f32_e32 v7, v40, v46
	v_add_f32_e32 v0, v0, v46
	v_fmamk_f32 v4, v6, 0xbf5db3d7, v2
	v_fmac_f32_e32 v2, 0x3f5db3d7, v6
	scratch_load_b32 v6, off, off offset:320 th:TH_LOAD_LU ; 4-byte Folded Reload
	v_fmamk_f32 v5, v7, 0x3f5db3d7, v3
	v_fmac_f32_e32 v3, 0xbf5db3d7, v7
	v_sub_f32_e32 v7, v59, v62
	s_wait_loadcnt 0x1
	ds_store_2addr_b64 v8, v[0:1], v[4:5] offset1:90
	ds_store_b64 v8, v[2:3] offset:1440
	scratch_load_b32 v8, off, off offset:316 th:TH_LOAD_LU ; 4-byte Folded Reload
	v_add_f32_e32 v0, v60, v57
	v_dual_add_f32 v3, v56, v58 :: v_dual_add_f32 v2, v10, v60
	v_sub_f32_e32 v4, v56, v58
	v_sub_f32_e32 v5, v60, v57
	s_delay_alu instid0(VALU_DEP_4) | instskip(NEXT) | instid1(VALU_DEP_4)
	v_fma_f32 v10, -0.5, v0, v10
	v_dual_add_f32 v0, v11, v56 :: v_dual_fmac_f32 v11, -0.5, v3
	s_delay_alu instid0(VALU_DEP_1) | instskip(NEXT) | instid1(VALU_DEP_3)
	v_dual_add_f32 v1, v0, v58 :: v_dual_add_f32 v0, v2, v57
	v_fmamk_f32 v2, v4, 0xbf5db3d7, v10
	s_delay_alu instid0(VALU_DEP_3)
	v_dual_fmamk_f32 v3, v5, 0x3f5db3d7, v11 :: v_dual_fmac_f32 v10, 0x3f5db3d7, v4
	v_fmac_f32_e32 v11, 0xbf5db3d7, v5
	s_wait_loadcnt 0x1
	ds_store_2addr_b64 v6, v[0:1], v[2:3] offset1:90
	v_add_f32_e32 v2, v59, v62
	ds_store_b64 v6, v[10:11] offset:1440
	v_sub_f32_e32 v6, v61, v63
	v_add_f32_e32 v0, v13, v61
	v_add_f32_e32 v3, v61, v63
	v_fma_f32 v2, -0.5, v2, v12
	s_delay_alu instid0(VALU_DEP_3) | instskip(SKIP_1) | instid1(VALU_DEP_3)
	v_add_f32_e32 v1, v0, v63
	v_add_f32_e32 v0, v12, v59
	v_fmamk_f32 v4, v6, 0xbf5db3d7, v2
	v_fmac_f32_e32 v2, 0x3f5db3d7, v6
	scratch_load_b32 v6, off, off offset:312 th:TH_LOAD_LU ; 4-byte Folded Reload
	v_fma_f32 v3, -0.5, v3, v13
	s_delay_alu instid0(VALU_DEP_1)
	v_dual_add_f32 v0, v0, v62 :: v_dual_fmamk_f32 v5, v7, 0x3f5db3d7, v3
	v_fmac_f32_e32 v3, 0xbf5db3d7, v7
	v_sub_f32_e32 v7, v55, v65
	s_wait_loadcnt 0x1
	ds_store_2addr_b64 v8, v[0:1], v[4:5] offset1:90
	ds_store_b64 v8, v[2:3] offset:1440
	v_add_f32_e32 v0, v68, v53
	v_dual_add_f32 v3, v52, v54 :: v_dual_add_f32 v2, v14, v68
	v_sub_f32_e32 v4, v52, v54
	v_sub_f32_e32 v5, v68, v53
	s_delay_alu instid0(VALU_DEP_4) | instskip(NEXT) | instid1(VALU_DEP_4)
	v_fma_f32 v14, -0.5, v0, v14
	v_dual_add_f32 v0, v15, v52 :: v_dual_fmac_f32 v15, -0.5, v3
	scratch_load_b32 v8, off, off offset:308 th:TH_LOAD_LU ; 4-byte Folded Reload
	v_dual_add_f32 v1, v0, v54 :: v_dual_add_f32 v0, v2, v53
	v_fmamk_f32 v2, v4, 0xbf5db3d7, v14
	v_dual_fmamk_f32 v3, v5, 0x3f5db3d7, v15 :: v_dual_fmac_f32 v14, 0x3f5db3d7, v4
	v_fmac_f32_e32 v15, 0xbf5db3d7, v5
	s_wait_loadcnt 0x1
	ds_store_2addr_b64 v6, v[0:1], v[2:3] offset1:90
	v_add_f32_e32 v2, v55, v65
	ds_store_b64 v6, v[14:15] offset:1440
	v_sub_f32_e32 v6, v64, v66
	v_add_f32_e32 v0, v20, v64
	v_add_f32_e32 v3, v64, v66
	v_fma_f32 v2, -0.5, v2, v19
	s_delay_alu instid0(VALU_DEP_3) | instskip(NEXT) | instid1(VALU_DEP_2)
	v_dual_add_f32 v1, v0, v66 :: v_dual_add_f32 v0, v19, v55
	v_fmamk_f32 v4, v6, 0xbf5db3d7, v2
	v_fmac_f32_e32 v2, 0x3f5db3d7, v6
	scratch_load_b32 v6, off, off offset:304 th:TH_LOAD_LU ; 4-byte Folded Reload
	v_fma_f32 v3, -0.5, v3, v20
	s_delay_alu instid0(VALU_DEP_1)
	v_dual_add_f32 v0, v0, v65 :: v_dual_fmamk_f32 v5, v7, 0x3f5db3d7, v3
	v_fmac_f32_e32 v3, 0xbf5db3d7, v7
	s_wait_loadcnt 0x1
	ds_store_2addr_b64 v8, v[0:1], v[4:5] offset1:90
	v_add_f32_e32 v0, v67, v49
	ds_store_b64 v8, v[2:3] offset:1440
	v_dual_add_f32 v2, v21, v67 :: v_dual_add_f32 v1, v22, v48
	v_sub_f32_e32 v4, v48, v50
	v_fma_f32 v21, -0.5, v0, v21
	v_dual_add_f32 v0, v48, v50 :: v_dual_sub_f32 v5, v67, v49
	s_delay_alu instid0(VALU_DEP_1) | instskip(SKIP_1) | instid1(VALU_DEP_4)
	v_dual_add_f32 v1, v1, v50 :: v_dual_fmac_f32 v22, -0.5, v0
	v_add_f32_e32 v0, v2, v49
	v_fmamk_f32 v2, v4, 0xbf5db3d7, v21
	v_fmac_f32_e32 v21, 0x3f5db3d7, v4
	s_delay_alu instid0(VALU_DEP_4)
	v_fmamk_f32 v3, v5, 0x3f5db3d7, v22
	v_fmac_f32_e32 v22, 0xbf5db3d7, v5
	s_wait_loadcnt 0x0
	ds_store_2addr_b64 v6, v[0:1], v[2:3] offset0:112 offset1:202
	scratch_load_b32 v0, off, off offset:300 th:TH_LOAD_LU ; 4-byte Folded Reload
	s_wait_loadcnt 0x0
	ds_store_b64 v0, v[21:22] offset:18720
	global_wb scope:SCOPE_SE
	s_wait_dscnt 0x0
	s_barrier_signal -1
	s_barrier_wait -1
	global_inv scope:SCOPE_SE
	s_clause 0x1
	scratch_load_b128 v[6:9], off, off offset:388 th:TH_LOAD_LU
	scratch_load_b128 v[19:22], off, off offset:420 th:TH_LOAD_LU
	ds_load_2addr_b64 v[0:3], v233 offset0:42 offset1:123
	s_wait_dscnt 0x0
	v_mul_f32_e32 v18, v250, v3
	s_delay_alu instid0(VALU_DEP_1) | instskip(SKIP_2) | instid1(VALU_DEP_1)
	v_fmac_f32_e32 v18, v249, v2
	s_wait_loadcnt 0x1
	v_mul_f32_e32 v12, v7, v1
	v_fmac_f32_e32 v12, v6, v0
	v_mul_f32_e32 v0, v7, v0
	s_delay_alu instid0(VALU_DEP_1) | instskip(SKIP_4) | instid1(VALU_DEP_2)
	v_fma_f32 v15, v6, v1, -v0
	ds_load_2addr_b64 v[4:7], v203 offset0:84 offset1:165
	s_wait_dscnt 0x0
	v_mul_f32_e32 v0, v9, v4
	v_dual_mul_f32 v17, v9, v5 :: v_dual_mul_f32 v46, v252, v7
	v_fma_f32 v16, v8, v5, -v0
	s_delay_alu instid0(VALU_DEP_2) | instskip(NEXT) | instid1(VALU_DEP_3)
	v_dual_mul_f32 v0, v250, v2 :: v_dual_fmac_f32 v17, v8, v4
	v_fmac_f32_e32 v46, v251, v6
	s_delay_alu instid0(VALU_DEP_3) | instskip(NEXT) | instid1(VALU_DEP_3)
	v_add_f32_e32 v24, v15, v16
	v_fma_f32 v45, v249, v3, -v0
	v_dual_mul_f32 v0, v252, v6 :: v_dual_sub_f32 v25, v15, v16
	s_delay_alu instid0(VALU_DEP_1)
	v_fma_f32 v47, v251, v7, -v0
	ds_load_2addr_b64 v[0:3], v202 offset0:76 offset1:157
	ds_load_2addr_b64 v[4:7], v224 offset0:118 offset1:199
	s_wait_dscnt 0x1
	v_mul_f32_e32 v48, v93, v1
	s_wait_dscnt 0x0
	v_mul_f32_e32 v54, v79, v7
	v_mul_f32_e32 v52, v77, v3
	;; [unrolled: 1-line block ×3, first 2 shown]
	v_fmac_f32_e32 v48, v92, v0
	v_mul_f32_e32 v0, v93, v0
	v_fmac_f32_e32 v54, v78, v6
	v_fmac_f32_e32 v52, v76, v2
	;; [unrolled: 1-line block ×3, first 2 shown]
	s_delay_alu instid0(VALU_DEP_4) | instskip(SKIP_1) | instid1(VALU_DEP_1)
	v_fma_f32 v49, v92, v1, -v0
	v_mul_f32_e32 v0, v95, v4
	v_fma_f32 v51, v94, v5, -v0
	v_mul_f32_e32 v0, v77, v2
	s_delay_alu instid0(VALU_DEP_1) | instskip(SKIP_1) | instid1(VALU_DEP_1)
	v_fma_f32 v53, v76, v3, -v0
	v_mul_f32_e32 v0, v79, v6
	v_fma_f32 v55, v78, v7, -v0
	scratch_load_b128 v[6:9], off, off offset:452 th:TH_LOAD_LU ; 16-byte Folded Reload
	ds_load_2addr_b64 v[0:3], v206 offset0:110 offset1:191
	s_wait_loadcnt_dscnt 0x100
	v_mul_f32_e32 v57, v20, v3
	s_delay_alu instid0(VALU_DEP_1) | instskip(SKIP_2) | instid1(VALU_DEP_1)
	v_fmac_f32_e32 v57, v19, v2
	s_wait_loadcnt 0x0
	v_mul_f32_e32 v11, v7, v1
	v_fmac_f32_e32 v11, v6, v0
	v_mul_f32_e32 v0, v7, v0
	s_delay_alu instid0(VALU_DEP_1) | instskip(SKIP_4) | instid1(VALU_DEP_2)
	v_fma_f32 v13, v6, v1, -v0
	ds_load_2addr_b64 v[4:7], v201 offset0:152 offset1:233
	s_wait_dscnt 0x0
	v_mul_f32_e32 v0, v9, v4
	v_dual_mul_f32 v14, v9, v5 :: v_dual_mul_f32 v59, v22, v7
	v_fma_f32 v56, v8, v5, -v0
	v_mul_f32_e32 v0, v20, v2
	s_delay_alu instid0(VALU_DEP_3) | instskip(NEXT) | instid1(VALU_DEP_2)
	v_dual_fmac_f32 v14, v8, v4 :: v_dual_fmac_f32 v59, v21, v6
	v_fma_f32 v58, v19, v3, -v0
	v_mul_f32_e32 v0, v22, v6
	s_delay_alu instid0(VALU_DEP_1)
	v_fma_f32 v60, v21, v7, -v0
	scratch_load_b128 v[6:9], off, off offset:404 th:TH_LOAD_LU ; 16-byte Folded Reload
	ds_load_2addr_b64 v[0:3], v232 offset0:16 offset1:97
	ds_load_2addr_b64 v[19:22], v229 offset0:92 offset1:173
	s_wait_dscnt 0x0
	v_mul_f32_e32 v10, v243, v21
	s_delay_alu instid0(VALU_DEP_1) | instskip(SKIP_2) | instid1(VALU_DEP_1)
	v_fma_f32 v10, v242, v22, -v10
	s_wait_loadcnt 0x0
	v_mul_f32_e32 v61, v7, v1
	v_fmac_f32_e32 v61, v6, v0
	v_mul_f32_e32 v0, v7, v0
	s_delay_alu instid0(VALU_DEP_1) | instskip(SKIP_2) | instid1(VALU_DEP_1)
	v_fma_f32 v62, v6, v1, -v0
	ds_load_2addr_b64 v[4:7], v188 offset0:58 offset1:139
	v_mul_f32_e32 v1, v37, v2
	v_fma_f32 v65, v36, v3, -v1
	s_wait_dscnt 0x0
	v_mul_f32_e32 v0, v9, v4
	v_mul_f32_e32 v63, v9, v5
	;; [unrolled: 1-line block ×3, first 2 shown]
	s_delay_alu instid0(VALU_DEP_3) | instskip(SKIP_4) | instid1(VALU_DEP_4)
	v_fma_f32 v64, v8, v5, -v0
	v_mul_f32_e32 v0, v37, v3
	v_mul_f32_e32 v3, v39, v7
	v_fmac_f32_e32 v63, v8, v4
	v_fma_f32 v8, v38, v7, -v1
	v_fmac_f32_e32 v0, v36, v2
	s_delay_alu instid0(VALU_DEP_4) | instskip(SKIP_4) | instid1(VALU_DEP_2)
	v_fmac_f32_e32 v3, v38, v6
	ds_load_2addr_b64 v[4:7], v187 offset0:50 offset1:131
	s_wait_dscnt 0x0
	v_mul_f32_e32 v2, v237, v4
	v_mul_f32_e32 v1, v237, v5
	v_fma_f32 v5, v236, v5, -v2
	s_delay_alu instid0(VALU_DEP_2) | instskip(SKIP_1) | instid1(VALU_DEP_2)
	v_dual_mul_f32 v2, v239, v19 :: v_dual_fmac_f32 v1, v236, v4
	v_mul_f32_e32 v4, v239, v20
	v_fma_f32 v9, v238, v20, -v2
	v_mul_f32_e32 v2, v241, v7
	s_delay_alu instid0(VALU_DEP_3) | instskip(NEXT) | instid1(VALU_DEP_2)
	v_fmac_f32_e32 v4, v238, v19
	v_fmac_f32_e32 v2, v240, v6
	v_mul_f32_e32 v6, v241, v6
	s_delay_alu instid0(VALU_DEP_1) | instskip(SKIP_1) | instid1(VALU_DEP_1)
	v_fma_f32 v7, v240, v7, -v6
	v_mul_f32_e32 v6, v243, v22
	v_fmac_f32_e32 v6, v242, v21
	ds_load_2addr_b64 v[19:22], v128 offset1:81
	s_wait_dscnt 0x0
	v_add_f32_e32 v23, v20, v15
	v_add_f32_e32 v15, v19, v12
	v_fma_f32 v20, -0.5, v24, v20
	s_delay_alu instid0(VALU_DEP_3) | instskip(SKIP_1) | instid1(VALU_DEP_4)
	v_dual_add_f32 v16, v23, v16 :: v_dual_add_f32 v23, v12, v17
	v_sub_f32_e32 v12, v12, v17
	v_add_f32_e32 v15, v15, v17
	v_add_f32_e32 v17, v22, v45
	s_delay_alu instid0(VALU_DEP_4) | instskip(NEXT) | instid1(VALU_DEP_4)
	v_fma_f32 v19, -0.5, v23, v19
	v_fmamk_f32 v40, v12, 0x3f5db3d7, v20
	v_fmac_f32_e32 v20, 0xbf5db3d7, v12
	v_add_f32_e32 v12, v21, v18
	s_delay_alu instid0(VALU_DEP_4)
	v_fmamk_f32 v39, v25, 0xbf5db3d7, v19
	v_fmac_f32_e32 v19, 0x3f5db3d7, v25
	ds_load_2addr_b64 v[23:26], v128 offset0:162 offset1:243
	ds_load_2addr_b64 v[27:30], v225 offset0:68 offset1:149
	;; [unrolled: 1-line block ×4, first 2 shown]
	global_wb scope:SCOPE_SE
	s_wait_dscnt 0x0
	s_barrier_signal -1
	s_barrier_wait -1
	global_inv scope:SCOPE_SE
	ds_store_b64 v128, v[39:40] offset:2160
	ds_store_b64 v128, v[19:20] offset:4320
	v_dual_add_f32 v19, v12, v46 :: v_dual_add_f32 v20, v17, v47
	v_sub_f32_e32 v17, v49, v51
	ds_store_2addr_b64 v128, v[15:16], v[19:20] offset1:81
	v_add_f32_e32 v12, v23, v48
	v_add_f32_e32 v16, v24, v49
	s_delay_alu instid0(VALU_DEP_2) | instskip(NEXT) | instid1(VALU_DEP_2)
	v_add_f32_e32 v15, v12, v50
	v_add_f32_e32 v16, v16, v51
	;; [unrolled: 1-line block ×3, first 2 shown]
	ds_store_b64 v128, v[15:16] offset:1296
	v_fma_f32 v21, -0.5, v12, v21
	v_add_f32_e32 v12, v45, v47
	v_sub_f32_e32 v16, v45, v47
	s_delay_alu instid0(VALU_DEP_2) | instskip(NEXT) | instid1(VALU_DEP_2)
	v_fmac_f32_e32 v22, -0.5, v12
	v_dual_sub_f32 v12, v18, v46 :: v_dual_fmamk_f32 v15, v16, 0xbf5db3d7, v21
	v_dual_fmac_f32 v21, 0x3f5db3d7, v16 :: v_dual_add_f32 v16, v49, v51
	v_add_f32_e32 v18, v48, v50
	s_delay_alu instid0(VALU_DEP_2) | instskip(NEXT) | instid1(VALU_DEP_2)
	v_fma_f32 v20, -0.5, v16, v24
	v_fma_f32 v19, -0.5, v18, v23
	v_sub_f32_e32 v18, v48, v50
	v_fmamk_f32 v16, v12, 0x3f5db3d7, v22
	v_fmac_f32_e32 v22, 0xbf5db3d7, v12
	s_delay_alu instid0(VALU_DEP_4) | instskip(NEXT) | instid1(VALU_DEP_4)
	v_dual_add_f32 v12, v52, v54 :: v_dual_fmamk_f32 v23, v17, 0xbf5db3d7, v19
	v_dual_fmac_f32 v19, 0x3f5db3d7, v17 :: v_dual_fmamk_f32 v24, v18, 0x3f5db3d7, v20
	v_fmac_f32_e32 v20, 0xbf5db3d7, v18
	ds_store_2addr_b64 v193, v[21:22], v[19:20] offset0:109 offset1:190
	ds_store_2addr_b64 v225, v[15:16], v[23:24] offset0:95 offset1:176
	scratch_load_b32 v18, off, off offset:292 th:TH_LOAD_LU ; 4-byte Folded Reload
	v_add_f32_e32 v15, v25, v52
	v_fma_f32 v25, -0.5, v12, v25
	v_add_f32_e32 v12, v53, v55
	v_dual_add_f32 v16, v26, v53 :: v_dual_sub_f32 v17, v52, v54
	s_delay_alu instid0(VALU_DEP_2) | instskip(SKIP_1) | instid1(VALU_DEP_3)
	v_dual_add_f32 v15, v15, v54 :: v_dual_fmac_f32 v26, -0.5, v12
	v_sub_f32_e32 v12, v53, v55
	v_add_f32_e32 v16, v16, v55
	s_delay_alu instid0(VALU_DEP_3) | instskip(NEXT) | instid1(VALU_DEP_3)
	v_fmamk_f32 v20, v17, 0x3f5db3d7, v26
	v_fmamk_f32 v19, v12, 0xbf5db3d7, v25
	v_dual_fmac_f32 v25, 0x3f5db3d7, v12 :: v_dual_add_f32 v12, v11, v14
	v_fmac_f32_e32 v26, 0xbf5db3d7, v17
	v_add_f32_e32 v17, v29, v57
	s_wait_loadcnt 0x0
	ds_store_b64 v18, v[15:16]
	v_add_f32_e32 v16, v13, v56
	v_fma_f32 v15, -0.5, v12, v27
	v_sub_f32_e32 v12, v13, v56
	ds_store_b64 v18, v[25:26] offset:4320
	ds_store_b64 v18, v[19:20] offset:2160
	v_add_f32_e32 v18, v30, v58
	v_fma_f32 v16, -0.5, v16, v28
	v_fmamk_f32 v19, v12, 0xbf5db3d7, v15
	v_dual_fmac_f32 v15, 0x3f5db3d7, v12 :: v_dual_sub_f32 v12, v11, v14
	s_delay_alu instid0(VALU_DEP_1) | instskip(SKIP_1) | instid1(VALU_DEP_2)
	v_dual_add_f32 v11, v27, v11 :: v_dual_fmamk_f32 v20, v12, 0x3f5db3d7, v16
	v_fmac_f32_e32 v16, 0xbf5db3d7, v12
	v_dual_add_f32 v12, v57, v59 :: v_dual_add_f32 v11, v11, v14
	v_add_f32_e32 v14, v18, v60
	v_sub_f32_e32 v18, v61, v63
	s_delay_alu instid0(VALU_DEP_3) | instskip(SKIP_1) | instid1(VALU_DEP_1)
	v_fma_f32 v29, -0.5, v12, v29
	v_add_f32_e32 v12, v58, v60
	v_fmac_f32_e32 v30, -0.5, v12
	v_sub_f32_e32 v12, v58, v60
	s_delay_alu instid0(VALU_DEP_1) | instskip(SKIP_1) | instid1(VALU_DEP_1)
	v_fmamk_f32 v21, v12, 0xbf5db3d7, v29
	v_dual_fmac_f32 v29, 0x3f5db3d7, v12 :: v_dual_sub_f32 v12, v57, v59
	v_fmamk_f32 v22, v12, 0x3f5db3d7, v30
	v_fmac_f32_e32 v30, 0xbf5db3d7, v12
	v_dual_add_f32 v12, v28, v13 :: v_dual_add_f32 v13, v17, v59
	v_sub_f32_e32 v17, v62, v64
	ds_store_2addr_b64 v232, v[15:16], v[29:30] offset0:124 offset1:205
	v_add_f32_e32 v12, v12, v56
	ds_store_2addr_b64 v233, v[11:12], v[13:14] offset0:96 offset1:177
	ds_store_2addr_b64 v206, v[19:20], v[21:22] offset0:110 offset1:191
	scratch_load_b32 v19, off, off offset:296 th:TH_LOAD_LU ; 4-byte Folded Reload
	v_dual_add_f32 v14, v62, v64 :: v_dual_add_f32 v13, v61, v63
	v_dual_add_f32 v11, v31, v61 :: v_dual_add_f32 v12, v32, v62
	s_delay_alu instid0(VALU_DEP_2) | instskip(NEXT) | instid1(VALU_DEP_3)
	v_fma_f32 v14, -0.5, v14, v32
	v_fma_f32 v13, -0.5, v13, v31
	s_delay_alu instid0(VALU_DEP_3) | instskip(NEXT) | instid1(VALU_DEP_3)
	v_dual_add_f32 v11, v11, v63 :: v_dual_add_f32 v12, v12, v64
	v_fmamk_f32 v16, v18, 0x3f5db3d7, v14
	s_delay_alu instid0(VALU_DEP_3)
	v_fmamk_f32 v15, v17, 0xbf5db3d7, v13
	v_fmac_f32_e32 v13, 0x3f5db3d7, v17
	v_fmac_f32_e32 v14, 0xbf5db3d7, v18
	s_wait_loadcnt 0x0
	ds_store_b64 v19, v[11:12]
	v_dual_add_f32 v11, v0, v3 :: v_dual_add_f32 v12, v34, v65
	ds_store_b64 v19, v[15:16] offset:2160
	ds_store_b64 v19, v[13:14] offset:4320
	v_add_f32_e32 v13, v33, v0
	v_sub_f32_e32 v15, v65, v8
	v_fma_f32 v33, -0.5, v11, v33
	v_add_f32_e32 v11, v65, v8
	v_add_f32_e32 v12, v12, v8
	scratch_load_b32 v8, off, off offset:344 th:TH_LOAD_LU ; 4-byte Folded Reload
	v_sub_f32_e32 v0, v0, v3
	v_fmac_f32_e32 v34, -0.5, v11
	v_add_f32_e32 v11, v13, v3
	v_add_f32_e32 v3, v36, v5
	v_fmamk_f32 v13, v15, 0xbf5db3d7, v33
	s_delay_alu instid0(VALU_DEP_4)
	v_dual_fmac_f32 v33, 0x3f5db3d7, v15 :: v_dual_fmamk_f32 v14, v0, 0x3f5db3d7, v34
	v_fmac_f32_e32 v34, 0xbf5db3d7, v0
	v_add_f32_e32 v0, v35, v1
	s_wait_loadcnt 0x0
	ds_store_b64 v8, v[11:12] offset:12960
	v_dual_add_f32 v11, v0, v4 :: v_dual_add_f32 v12, v3, v9
	v_add_f32_e32 v0, v5, v9
	v_sub_f32_e32 v3, v5, v9
	v_add_f32_e32 v5, v1, v4
	ds_store_b64 v8, v[33:34] offset:17280
	ds_store_b64 v8, v[13:14] offset:15120
	v_sub_f32_e32 v4, v1, v4
	v_fma_f32 v9, -0.5, v0, v36
	scratch_load_b32 v13, off, off offset:364 th:TH_LOAD_LU ; 4-byte Folded Reload
	v_fma_f32 v8, -0.5, v5, v35
	v_add_f32_e32 v5, v2, v6
	v_fmamk_f32 v1, v4, 0x3f5db3d7, v9
	s_delay_alu instid0(VALU_DEP_3) | instskip(SKIP_1) | instid1(VALU_DEP_4)
	v_dual_fmac_f32 v9, 0xbf5db3d7, v4 :: v_dual_fmamk_f32 v0, v3, 0xbf5db3d7, v8
	v_dual_fmac_f32 v8, 0x3f5db3d7, v3 :: v_dual_add_f32 v3, v37, v2
	v_fma_f32 v37, -0.5, v5, v37
	v_dual_add_f32 v5, v7, v10 :: v_dual_add_f32 v4, v38, v7
	v_sub_f32_e32 v2, v2, v6
	s_delay_alu instid0(VALU_DEP_4) | instskip(NEXT) | instid1(VALU_DEP_3)
	v_add_f32_e32 v3, v3, v6
	v_dual_sub_f32 v7, v7, v10 :: v_dual_fmac_f32 v38, -0.5, v5
	s_delay_alu instid0(VALU_DEP_1) | instskip(NEXT) | instid1(VALU_DEP_2)
	v_dual_add_f32 v4, v4, v10 :: v_dual_fmamk_f32 v5, v7, 0xbf5db3d7, v37
	v_fmamk_f32 v6, v2, 0x3f5db3d7, v38
	v_fmac_f32_e32 v38, 0xbf5db3d7, v2
	scratch_load_b32 v2, off, off offset:340 th:TH_LOAD_LU ; 4-byte Folded Reload
	v_fmac_f32_e32 v37, 0x3f5db3d7, v7
	s_wait_loadcnt 0x1
	ds_store_b64 v13, v[11:12] offset:12960
	ds_store_b64 v13, v[8:9] offset:17280
	s_wait_loadcnt 0x0
	ds_store_b64 v2, v[37:38] offset:17280
	ds_store_b64 v13, v[0:1] offset:15120
	;; [unrolled: 1-line block ×4, first 2 shown]
	global_wb scope:SCOPE_SE
	s_wait_dscnt 0x0
	s_barrier_signal -1
	s_barrier_wait -1
	global_inv scope:SCOPE_SE
	scratch_load_b128 v[6:9], off, off offset:368 th:TH_LOAD_LU ; 16-byte Folded Reload
	ds_load_2addr_b64 v[0:3], v233 offset0:42 offset1:123
	s_wait_loadcnt_dscnt 0x0
	v_mul_f32_e32 v12, v7, v1
	s_delay_alu instid0(VALU_DEP_1) | instskip(SKIP_1) | instid1(VALU_DEP_1)
	v_fmac_f32_e32 v12, v6, v0
	v_mul_f32_e32 v0, v7, v0
	v_fma_f32 v13, v6, v1, -v0
	ds_load_2addr_b64 v[4:7], v203 offset0:84 offset1:165
	s_wait_dscnt 0x0
	v_mul_f32_e32 v14, v9, v5
	v_mul_f32_e32 v0, v9, v4
	s_delay_alu instid0(VALU_DEP_2) | instskip(NEXT) | instid1(VALU_DEP_2)
	v_fmac_f32_e32 v14, v8, v4
	v_fma_f32 v15, v8, v5, -v0
	scratch_load_b128 v[8:11], off, off offset:348 th:TH_LOAD_LU ; 16-byte Folded Reload
	s_wait_loadcnt 0x0
	v_mul_f32_e32 v0, v9, v2
	v_mul_f32_e32 v18, v9, v3
	;; [unrolled: 1-line block ×3, first 2 shown]
	s_delay_alu instid0(VALU_DEP_3) | instskip(SKIP_1) | instid1(VALU_DEP_4)
	v_fma_f32 v29, v8, v3, -v0
	v_mul_f32_e32 v0, v11, v6
	v_fmac_f32_e32 v18, v8, v2
	s_delay_alu instid0(VALU_DEP_4) | instskip(NEXT) | instid1(VALU_DEP_3)
	v_fmac_f32_e32 v30, v10, v6
	v_fma_f32 v31, v10, v7, -v0
	ds_load_2addr_b64 v[0:3], v202 offset0:76 offset1:157
	ds_load_2addr_b64 v[4:7], v224 offset0:118 offset1:199
	s_wait_dscnt 0x1
	v_mul_f32_e32 v32, v101, v1
	s_wait_dscnt 0x0
	v_mul_f32_e32 v34, v103, v5
	v_mul_f32_e32 v36, v97, v3
	;; [unrolled: 1-line block ×3, first 2 shown]
	v_fmac_f32_e32 v32, v100, v0
	v_mul_f32_e32 v0, v101, v0
	v_fmac_f32_e32 v34, v102, v4
	v_fmac_f32_e32 v36, v96, v2
	;; [unrolled: 1-line block ×3, first 2 shown]
	s_delay_alu instid0(VALU_DEP_4) | instskip(SKIP_1) | instid1(VALU_DEP_1)
	v_fma_f32 v33, v100, v1, -v0
	v_mul_f32_e32 v0, v103, v4
	v_fma_f32 v35, v102, v5, -v0
	v_mul_f32_e32 v0, v97, v2
	s_delay_alu instid0(VALU_DEP_1)
	v_fma_f32 v37, v96, v3, -v0
	v_mul_f32_e32 v0, v99, v6
	ds_load_2addr_b64 v[2:5], v206 offset0:110 offset1:191
	v_fma_f32 v39, v98, v7, -v0
	ds_load_2addr_b64 v[6:9], v201 offset0:152 offset1:233
	s_wait_dscnt 0x1
	v_mul_f32_e32 v0, v125, v3
	v_mul_f32_e32 v1, v125, v2
	s_delay_alu instid0(VALU_DEP_2) | instskip(NEXT) | instid1(VALU_DEP_2)
	v_dual_mul_f32 v45, v117, v5 :: v_dual_fmac_f32 v0, v124, v2
	v_fma_f32 v2, v124, v3, -v1
	s_wait_dscnt 0x0
	v_mul_f32_e32 v1, v127, v6
	v_mul_f32_e32 v3, v127, v7
	v_fmac_f32_e32 v45, v116, v4
	v_mul_f32_e32 v47, v119, v9
	s_delay_alu instid0(VALU_DEP_4) | instskip(SKIP_2) | instid1(VALU_DEP_4)
	v_fma_f32 v40, v126, v7, -v1
	v_mul_f32_e32 v1, v117, v4
	v_fmac_f32_e32 v3, v126, v6
	v_fmac_f32_e32 v47, v118, v8
	s_delay_alu instid0(VALU_DEP_3)
	v_fma_f32 v46, v116, v5, -v1
	v_mul_f32_e32 v1, v119, v8
	ds_load_2addr_b64 v[4:7], v232 offset0:16 offset1:97
	v_fma_f32 v48, v118, v9, -v1
	ds_load_2addr_b64 v[8:11], v188 offset0:58 offset1:139
	s_wait_dscnt 0x1
	v_mul_f32_e32 v1, v121, v4
	v_mul_f32_e32 v49, v121, v5
	;; [unrolled: 1-line block ×3, first 2 shown]
	s_delay_alu instid0(VALU_DEP_3)
	v_fma_f32 v50, v120, v5, -v1
	s_wait_dscnt 0x0
	v_mul_f32_e32 v1, v123, v8
	v_fmac_f32_e32 v49, v120, v4
	v_fmac_f32_e32 v53, v112, v6
	v_mul_f32_e32 v51, v123, v9
	v_mul_f32_e32 v55, v115, v11
	v_fma_f32 v52, v122, v9, -v1
	v_mul_f32_e32 v1, v113, v6
	s_delay_alu instid0(VALU_DEP_4) | instskip(NEXT) | instid1(VALU_DEP_4)
	v_fmac_f32_e32 v51, v122, v8
	v_fmac_f32_e32 v55, v114, v10
	s_delay_alu instid0(VALU_DEP_3) | instskip(SKIP_2) | instid1(VALU_DEP_1)
	v_fma_f32 v54, v112, v7, -v1
	ds_load_2addr_b64 v[4:7], v187 offset0:50 offset1:131
	v_mul_f32_e32 v1, v115, v10
	v_fma_f32 v56, v114, v11, -v1
	ds_load_2addr_b64 v[8:11], v229 offset0:92 offset1:173
	s_wait_dscnt 0x1
	v_dual_mul_f32 v1, v109, v5 :: v_dual_mul_f32 v60, v42, v7
	s_delay_alu instid0(VALU_DEP_1) | instskip(SKIP_1) | instid1(VALU_DEP_3)
	v_fmac_f32_e32 v1, v108, v4
	v_mul_f32_e32 v4, v109, v4
	v_fmac_f32_e32 v60, v41, v6
	s_wait_dscnt 0x0
	v_mul_f32_e32 v58, v111, v9
	s_delay_alu instid0(VALU_DEP_3) | instskip(SKIP_1) | instid1(VALU_DEP_3)
	v_fma_f32 v57, v108, v5, -v4
	v_mul_f32_e32 v4, v111, v8
	v_fmac_f32_e32 v58, v110, v8
	s_delay_alu instid0(VALU_DEP_2) | instskip(SKIP_3) | instid1(VALU_DEP_3)
	v_fma_f32 v59, v110, v9, -v4
	v_mul_f32_e32 v4, v42, v6
	v_mul_f32_e32 v42, v44, v11
	v_add_f32_e32 v9, v13, v15
	v_fma_f32 v41, v41, v7, -v4
	v_mul_f32_e32 v4, v44, v10
	s_delay_alu instid0(VALU_DEP_4) | instskip(SKIP_1) | instid1(VALU_DEP_3)
	v_fmac_f32_e32 v42, v43, v10
	v_sub_f32_e32 v10, v13, v15
	v_fma_f32 v43, v43, v11, -v4
	ds_load_2addr_b64 v[4:7], v128 offset1:81
	s_wait_dscnt 0x0
	v_add_f32_e32 v8, v5, v13
	v_fma_f32 v5, -0.5, v9, v5
	s_delay_alu instid0(VALU_DEP_2) | instskip(SKIP_1) | instid1(VALU_DEP_1)
	v_add_f32_e32 v17, v8, v15
	v_add_f32_e32 v8, v4, v12
	;; [unrolled: 1-line block ×4, first 2 shown]
	s_delay_alu instid0(VALU_DEP_1) | instskip(NEXT) | instid1(VALU_DEP_1)
	v_fma_f32 v4, -0.5, v8, v4
	v_dual_sub_f32 v8, v12, v14 :: v_dual_fmamk_f32 v27, v10, 0xbf5db3d7, v4
	s_delay_alu instid0(VALU_DEP_1)
	v_fmamk_f32 v28, v8, 0x3f5db3d7, v5
	v_fmac_f32_e32 v4, 0x3f5db3d7, v10
	v_fmac_f32_e32 v5, 0xbf5db3d7, v8
	ds_load_2addr_b64 v[8:11], v128 offset0:162 offset1:243
	ds_load_2addr_b64 v[12:15], v225 offset0:68 offset1:149
	;; [unrolled: 1-line block ×4, first 2 shown]
	ds_store_b64 v128, v[27:28] offset:6480
	ds_store_b64 v128, v[4:5] offset:12960
	v_dual_add_f32 v4, v6, v18 :: v_dual_add_f32 v5, v7, v29
	s_delay_alu instid0(VALU_DEP_1) | instskip(SKIP_4) | instid1(VALU_DEP_3)
	v_dual_add_f32 v4, v4, v30 :: v_dual_add_f32 v5, v5, v31
	ds_store_2addr_b64 v128, v[16:17], v[4:5] offset1:81
	v_dual_add_f32 v4, v18, v30 :: v_dual_sub_f32 v5, v29, v31
	v_dual_sub_f32 v16, v18, v30 :: v_dual_add_f32 v17, v33, v35
	v_sub_f32_e32 v18, v33, v35
	v_fma_f32 v6, -0.5, v4, v6
	v_add_f32_e32 v4, v29, v31
	s_wait_dscnt 0x6
	v_fma_f32 v17, -0.5, v17, v9
	s_delay_alu instid0(VALU_DEP_2) | instskip(NEXT) | instid1(VALU_DEP_1)
	v_dual_fmac_f32 v7, -0.5, v4 :: v_dual_fmamk_f32 v4, v5, 0xbf5db3d7, v6
	v_dual_fmac_f32 v6, 0x3f5db3d7, v5 :: v_dual_fmamk_f32 v5, v16, 0x3f5db3d7, v7
	v_dual_fmac_f32 v7, 0xbf5db3d7, v16 :: v_dual_add_f32 v16, v32, v34
	s_delay_alu instid0(VALU_DEP_1) | instskip(NEXT) | instid1(VALU_DEP_1)
	v_fma_f32 v16, -0.5, v16, v8
	v_fmamk_f32 v27, v18, 0xbf5db3d7, v16
	v_fmac_f32_e32 v16, 0x3f5db3d7, v18
	v_sub_f32_e32 v18, v32, v34
	s_delay_alu instid0(VALU_DEP_1)
	v_fmamk_f32 v28, v18, 0x3f5db3d7, v17
	v_fmac_f32_e32 v17, 0xbf5db3d7, v18
	ds_store_2addr_b64 v203, v[6:7], v[16:17] offset0:165 offset1:246
	ds_store_2addr_b64 v233, v[4:5], v[27:28] offset0:123 offset1:204
	v_dual_add_f32 v4, v8, v32 :: v_dual_add_f32 v5, v9, v33
	v_dual_add_f32 v6, v10, v36 :: v_dual_add_f32 v7, v11, v37
	s_delay_alu instid0(VALU_DEP_2) | instskip(NEXT) | instid1(VALU_DEP_2)
	v_dual_sub_f32 v9, v2, v40 :: v_dual_add_f32 v4, v4, v34
	v_dual_add_f32 v5, v5, v35 :: v_dual_add_f32 v6, v6, v38
	s_delay_alu instid0(VALU_DEP_3)
	v_add_f32_e32 v7, v7, v39
	v_sub_f32_e32 v16, v0, v3
	v_dual_sub_f32 v17, v45, v47 :: v_dual_sub_f32 v18, v50, v52
	v_sub_f32_e32 v27, v49, v51
	ds_store_2addr_b64 v128, v[4:5], v[6:7] offset0:162 offset1:243
	v_dual_add_f32 v4, v36, v38 :: v_dual_sub_f32 v5, v37, v39
	v_dual_sub_f32 v6, v36, v38 :: v_dual_add_f32 v7, v2, v40
	v_add_nc_u32_e32 v28, 0x2400, v128
	s_delay_alu instid0(VALU_DEP_3) | instskip(SKIP_3) | instid1(VALU_DEP_2)
	v_fma_f32 v10, -0.5, v4, v10
	v_add_f32_e32 v4, v37, v39
	s_wait_dscnt 0x8
	v_fma_f32 v7, -0.5, v7, v13
	v_dual_fmac_f32 v11, -0.5, v4 :: v_dual_fmamk_f32 v4, v5, 0xbf5db3d7, v10
	s_delay_alu instid0(VALU_DEP_1) | instskip(SKIP_2) | instid1(VALU_DEP_2)
	v_dual_fmac_f32 v10, 0x3f5db3d7, v5 :: v_dual_fmamk_f32 v5, v6, 0x3f5db3d7, v11
	v_dual_fmac_f32 v11, 0xbf5db3d7, v6 :: v_dual_add_f32 v6, v0, v3
	v_add_f32_e32 v0, v12, v0
	v_fma_f32 v6, -0.5, v6, v12
	s_delay_alu instid0(VALU_DEP_1)
	v_fmamk_f32 v8, v9, 0xbf5db3d7, v6
	v_dual_fmac_f32 v6, 0x3f5db3d7, v9 :: v_dual_fmamk_f32 v9, v16, 0x3f5db3d7, v7
	v_fmac_f32_e32 v7, 0xbf5db3d7, v16
	ds_store_2addr_b64 v201, v[10:11], v[6:7] offset0:71 offset1:152
	ds_store_2addr_b64 v206, v[4:5], v[8:9] offset0:29 offset1:110
	v_add_f32_e32 v4, v45, v47
	v_dual_add_f32 v10, v14, v45 :: v_dual_add_f32 v11, v15, v46
	v_add_f32_e32 v5, v50, v52
	v_sub_f32_e32 v16, v46, v48
	s_delay_alu instid0(VALU_DEP_4) | instskip(SKIP_3) | instid1(VALU_DEP_2)
	v_fma_f32 v14, -0.5, v4, v14
	v_add_f32_e32 v4, v46, v48
	s_wait_dscnt 0x9
	v_fma_f32 v5, -0.5, v5, v20
	v_dual_fmamk_f32 v6, v16, 0xbf5db3d7, v14 :: v_dual_fmac_f32 v15, -0.5, v4
	s_delay_alu instid0(VALU_DEP_2) | instskip(SKIP_2) | instid1(VALU_DEP_4)
	v_dual_add_f32 v4, v49, v51 :: v_dual_fmamk_f32 v9, v27, 0x3f5db3d7, v5
	v_fmac_f32_e32 v14, 0x3f5db3d7, v16
	v_fmac_f32_e32 v5, 0xbf5db3d7, v27
	v_fmamk_f32 v7, v17, 0x3f5db3d7, v15
	s_delay_alu instid0(VALU_DEP_4) | instskip(NEXT) | instid1(VALU_DEP_1)
	v_fma_f32 v4, -0.5, v4, v19
	v_dual_fmac_f32 v15, 0xbf5db3d7, v17 :: v_dual_fmamk_f32 v8, v18, 0xbf5db3d7, v4
	v_fmac_f32_e32 v4, 0x3f5db3d7, v18
	ds_store_2addr_b64 v28, v[6:7], v[8:9] offset0:63 offset1:144
	v_add_nc_u32_e32 v6, 0x3c00, v128
	v_sub_f32_e32 v8, v1, v58
	ds_store_2addr_b64 v6, v[14:15], v[4:5] offset0:105 offset1:186
	v_add_f32_e32 v4, v13, v2
	v_dual_add_f32 v2, v0, v3 :: v_dual_add_f32 v5, v11, v48
	s_delay_alu instid0(VALU_DEP_2) | instskip(SKIP_4) | instid1(VALU_DEP_1)
	v_dual_add_f32 v0, v19, v49 :: v_dual_add_f32 v3, v4, v40
	v_add_f32_e32 v4, v10, v47
	ds_store_2addr_b64 v225, v[2:3], v[4:5] offset0:68 offset1:149
	v_add_f32_e32 v2, v0, v51
	v_dual_add_f32 v0, v21, v53 :: v_dual_add_f32 v3, v20, v50
	v_dual_add_f32 v5, v22, v54 :: v_dual_add_f32 v4, v0, v55
	s_delay_alu instid0(VALU_DEP_2) | instskip(NEXT) | instid1(VALU_DEP_2)
	v_dual_add_f32 v0, v53, v55 :: v_dual_add_f32 v3, v3, v52
	v_add_f32_e32 v5, v5, v56
	s_delay_alu instid0(VALU_DEP_2)
	v_fma_f32 v21, -0.5, v0, v21
	v_add_f32_e32 v0, v54, v56
	ds_store_2addr_b64 v191, v[2:3], v[4:5] offset0:102 offset1:183
	v_sub_f32_e32 v3, v54, v56
	v_dual_add_f32 v5, v57, v59 :: v_dual_fmac_f32 v22, -0.5, v0
	v_sub_f32_e32 v0, v53, v55
	s_delay_alu instid0(VALU_DEP_3)
	v_fmamk_f32 v2, v3, 0xbf5db3d7, v21
	v_fmac_f32_e32 v21, 0x3f5db3d7, v3
	s_wait_dscnt 0xc
	v_fma_f32 v5, -0.5, v5, v24
	v_fmamk_f32 v3, v0, 0x3f5db3d7, v22
	v_fmac_f32_e32 v22, 0xbf5db3d7, v0
	s_delay_alu instid0(VALU_DEP_3) | instskip(SKIP_4) | instid1(VALU_DEP_1)
	v_dual_add_f32 v0, v1, v58 :: v_dual_fmamk_f32 v7, v8, 0x3f5db3d7, v5
	v_fmac_f32_e32 v5, 0xbf5db3d7, v8
	ds_store_b64 v128, v[21:22] offset:17496
	v_fma_f32 v4, -0.5, v0, v23
	v_sub_f32_e32 v0, v57, v59
	v_fmamk_f32 v6, v0, 0xbf5db3d7, v4
	v_fmac_f32_e32 v4, 0x3f5db3d7, v0
	v_add_f32_e32 v0, v60, v42
	ds_store_2addr_b64 v232, v[2:3], v[6:7] offset0:97 offset1:178
	v_add_f32_e32 v6, v25, v60
	v_fma_f32 v25, -0.5, v0, v25
	v_dual_add_f32 v0, v41, v43 :: v_dual_add_f32 v7, v26, v41
	s_delay_alu instid0(VALU_DEP_1) | instskip(SKIP_1) | instid1(VALU_DEP_1)
	v_fmac_f32_e32 v26, -0.5, v0
	v_sub_f32_e32 v0, v41, v43
	v_fmamk_f32 v2, v0, 0xbf5db3d7, v25
	v_dual_fmac_f32 v25, 0x3f5db3d7, v0 :: v_dual_sub_f32 v0, v60, v42
	s_delay_alu instid0(VALU_DEP_1)
	v_fmamk_f32 v3, v0, 0x3f5db3d7, v26
	v_fmac_f32_e32 v26, 0xbf5db3d7, v0
	v_add_f32_e32 v0, v23, v1
	v_add_f32_e32 v1, v24, v57
	ds_store_2addr_b64 v229, v[4:5], v[25:26] offset0:92 offset1:173
	v_dual_add_f32 v0, v0, v58 :: v_dual_add_f32 v1, v1, v59
	v_dual_add_f32 v4, v6, v42 :: v_dual_add_f32 v5, v7, v43
	ds_store_2addr_b64 v193, v[0:1], v[4:5] offset0:136 offset1:217
	ds_store_b64 v128, v[2:3] offset:12312
	global_wb scope:SCOPE_SE
	s_wait_dscnt 0x0
	s_barrier_signal -1
	s_barrier_wait -1
	global_inv scope:SCOPE_SE
	scratch_load_b64 v[5:6], off, off offset:240 th:TH_LOAD_LU ; 8-byte Folded Reload
	ds_load_2addr_b64 v[1:4], v128 offset1:81
	s_clause 0x1
	scratch_load_b64 v[9:10], off, off offset:200 th:TH_LOAD_LU
	scratch_load_b64 v[12:13], off, off offset:192 th:TH_LOAD_LU
	ds_load_2addr_b64 v[19:22], v187 offset0:50 offset1:131
	scratch_load_b64 v[28:29], off, off offset:56 th:TH_LOAD_LU ; 8-byte Folded Reload
	s_wait_loadcnt_dscnt 0x301
	v_mul_f32_e32 v0, v6, v2
	s_delay_alu instid0(VALU_DEP_1) | instskip(SKIP_1) | instid1(VALU_DEP_1)
	v_fmac_f32_e32 v0, v5, v1
	v_mul_f32_e32 v1, v6, v1
	v_fma_f32 v1, v5, v2, -v1
	scratch_load_b64 v[5:6], off, off offset:224 th:TH_LOAD_LU ; 8-byte Folded Reload
	s_wait_loadcnt 0x0
	v_mul_f32_e32 v2, v6, v4
	s_delay_alu instid0(VALU_DEP_1) | instskip(SKIP_1) | instid1(VALU_DEP_1)
	v_fmac_f32_e32 v2, v5, v3
	v_mul_f32_e32 v3, v6, v3
	v_fma_f32 v4, v5, v4, -v3
	ds_load_2addr_b64 v[5:8], v191 offset0:102 offset1:183
	s_wait_dscnt 0x0
	v_mul_f32_e32 v15, v10, v6
	v_mul_f32_e32 v3, v10, v5
	s_delay_alu instid0(VALU_DEP_2) | instskip(NEXT) | instid1(VALU_DEP_2)
	v_fmac_f32_e32 v15, v9, v5
	v_fma_f32 v17, v9, v6, -v3
	scratch_load_b64 v[9:10], off, off offset:232 th:TH_LOAD_LU ; 8-byte Folded Reload
	s_wait_loadcnt 0x0
	v_mul_f32_e32 v3, v10, v8
	v_mul_f32_e32 v5, v10, v7
	s_delay_alu instid0(VALU_DEP_2) | instskip(NEXT) | instid1(VALU_DEP_2)
	v_fmac_f32_e32 v3, v9, v7
	v_fma_f32 v5, v9, v8, -v5
	ds_load_2addr_b64 v[6:9], v202 offset0:76 offset1:157
	s_wait_dscnt 0x0
	v_mul_f32_e32 v11, v13, v7
	s_delay_alu instid0(VALU_DEP_1) | instskip(SKIP_1) | instid1(VALU_DEP_1)
	v_fmac_f32_e32 v11, v12, v6
	v_mul_f32_e32 v6, v13, v6
	v_fma_f32 v14, v12, v7, -v6
	scratch_load_b64 v[12:13], off, off offset:216 th:TH_LOAD_LU ; 8-byte Folded Reload
	v_cvt_f64_f32_e32 v[36:37], v14
	s_wait_alu 0xfffe
	s_delay_alu instid0(VALU_DEP_1) | instskip(SKIP_3) | instid1(VALU_DEP_2)
	v_mul_f64_e32 v[36:37], s[2:3], v[36:37]
	s_wait_loadcnt 0x0
	v_mul_f32_e32 v6, v13, v9
	v_mul_f32_e32 v7, v13, v8
	v_fmac_f32_e32 v6, v12, v8
	s_delay_alu instid0(VALU_DEP_2) | instskip(SKIP_4) | instid1(VALU_DEP_2)
	v_fma_f32 v9, v12, v9, -v7
	scratch_load_b64 v[12:13], off, off offset:168 th:TH_LOAD_LU ; 8-byte Folded Reload
	s_wait_loadcnt 0x0
	v_mul_f32_e32 v38, v13, v20
	v_mul_f32_e32 v7, v13, v19
	v_fmac_f32_e32 v38, v12, v19
	s_delay_alu instid0(VALU_DEP_2)
	v_fma_f32 v39, v12, v20, -v7
	s_clause 0x1
	scratch_load_b64 v[12:13], off, off offset:208 th:TH_LOAD_LU
	scratch_load_b64 v[18:19], off, off offset:184 th:TH_LOAD_LU
	s_wait_loadcnt 0x1
	v_mul_f32_e32 v7, v13, v22
	v_mul_f32_e32 v8, v13, v21
	s_delay_alu instid0(VALU_DEP_2) | instskip(NEXT) | instid1(VALU_DEP_2)
	v_fmac_f32_e32 v7, v12, v21
	v_fma_f32 v8, v12, v22, -v8
	scratch_load_b64 v[12:13], off, off offset:160 th:TH_LOAD_LU ; 8-byte Folded Reload
	ds_load_2addr_b64 v[22:25], v201 offset0:152 offset1:233
	s_wait_loadcnt_dscnt 0x0
	v_mul_f32_e32 v21, v13, v23
	v_dual_mul_f32 v10, v13, v22 :: v_dual_mul_f32 v13, v19, v25
	s_delay_alu instid0(VALU_DEP_2) | instskip(NEXT) | instid1(VALU_DEP_2)
	v_fmac_f32_e32 v21, v12, v22
	v_fma_f32 v22, v12, v23, -v10
	v_mul_f32_e32 v10, v19, v24
	s_delay_alu instid0(VALU_DEP_4) | instskip(NEXT) | instid1(VALU_DEP_2)
	v_fmac_f32_e32 v13, v18, v24
	v_fma_f32 v23, v18, v25, -v10
	scratch_load_b64 v[18:19], off, off offset:152 th:TH_LOAD_LU ; 8-byte Folded Reload
	ds_load_2addr_b64 v[24:27], v128 offset0:162 offset1:243
	s_wait_loadcnt_dscnt 0x0
	v_mul_f32_e32 v30, v19, v27
	v_mul_f32_e32 v10, v19, v26
	s_delay_alu instid0(VALU_DEP_2) | instskip(NEXT) | instid1(VALU_DEP_2)
	v_fmac_f32_e32 v30, v18, v26
	v_fma_f32 v32, v18, v27, -v10
	scratch_load_b64 v[18:19], off, off offset:176 th:TH_LOAD_LU ; 8-byte Folded Reload
	v_cvt_f64_f32_e32 v[30:31], v30
	v_cvt_f64_f32_e32 v[32:33], v32
	s_delay_alu instid0(VALU_DEP_2) | instskip(NEXT) | instid1(VALU_DEP_2)
	v_mul_f64_e32 v[30:31], s[2:3], v[30:31]
	v_mul_f64_e32 v[32:33], s[2:3], v[32:33]
	s_delay_alu instid0(VALU_DEP_2) | instskip(NEXT) | instid1(VALU_DEP_2)
	v_cvt_f32_f64_e32 v30, v[30:31]
	v_cvt_f32_f64_e32 v31, v[32:33]
	s_wait_loadcnt 0x0
	v_mul_f32_e32 v10, v19, v25
	v_mul_f32_e32 v12, v19, v24
	s_delay_alu instid0(VALU_DEP_2) | instskip(NEXT) | instid1(VALU_DEP_2)
	v_fmac_f32_e32 v10, v18, v24
	v_fma_f32 v12, v18, v25, -v12
	scratch_load_b64 v[18:19], off, off offset:128 th:TH_LOAD_LU ; 8-byte Folded Reload
	ds_load_2addr_b64 v[24:27], v225 offset0:68 offset1:149
	s_wait_loadcnt_dscnt 0x0
	v_mul_f32_e32 v46, v19, v25
	v_mul_f32_e32 v16, v19, v24
	s_delay_alu instid0(VALU_DEP_2) | instskip(NEXT) | instid1(VALU_DEP_2)
	v_fmac_f32_e32 v46, v18, v24
	v_fma_f32 v47, v18, v25, -v16
	scratch_load_b64 v[24:25], off, off offset:136 th:TH_LOAD_LU ; 8-byte Folded Reload
	s_wait_loadcnt 0x0
	v_mul_f32_e32 v19, v25, v27
	v_mul_f32_e32 v16, v25, v26
	s_delay_alu instid0(VALU_DEP_2) | instskip(NEXT) | instid1(VALU_DEP_2)
	v_fmac_f32_e32 v19, v24, v26
	v_fma_f32 v18, v24, v27, -v16
	ds_load_2addr_b64 v[24:27], v193 offset0:136 offset1:217
	s_wait_dscnt 0x0
	v_mul_f32_e32 v34, v29, v27
	v_mul_f32_e32 v16, v29, v26
	s_delay_alu instid0(VALU_DEP_2) | instskip(NEXT) | instid1(VALU_DEP_2)
	v_fmac_f32_e32 v34, v28, v26
	v_fma_f32 v35, v28, v27, -v16
	s_clause 0x1
	scratch_load_b64 v[26:27], off, off offset:144 th:TH_LOAD_LU
	scratch_load_b64 v[28:29], off, off offset:96 th:TH_LOAD_LU
	v_cvt_f64_f32_e32 v[32:33], v35
	s_delay_alu instid0(VALU_DEP_1) | instskip(SKIP_3) | instid1(VALU_DEP_2)
	v_mul_f64_e32 v[32:33], s[2:3], v[32:33]
	s_wait_loadcnt 0x1
	v_mul_f32_e32 v20, v27, v25
	v_mul_f32_e32 v16, v27, v24
	v_fmac_f32_e32 v20, v26, v24
	s_delay_alu instid0(VALU_DEP_2) | instskip(SKIP_4) | instid1(VALU_DEP_2)
	v_fma_f32 v54, v26, v25, -v16
	ds_load_2addr_b64 v[24:27], v233 offset0:42 offset1:123
	s_wait_loadcnt_dscnt 0x0
	v_mul_f32_e32 v48, v29, v25
	v_mul_f32_e32 v16, v29, v24
	v_fmac_f32_e32 v48, v28, v24
	s_delay_alu instid0(VALU_DEP_2)
	v_fma_f32 v49, v28, v25, -v16
	s_clause 0x1
	scratch_load_b64 v[24:25], off, off offset:104 th:TH_LOAD_LU
	scratch_load_b64 v[28:29], off, off offset:24 th:TH_LOAD_LU
	s_wait_loadcnt 0x1
	v_mul_f32_e32 v55, v25, v27
	v_mul_f32_e32 v16, v25, v26
	s_delay_alu instid0(VALU_DEP_2) | instskip(NEXT) | instid1(VALU_DEP_2)
	v_fmac_f32_e32 v55, v24, v26
	v_fma_f32 v56, v24, v27, -v16
	ds_load_2addr_b64 v[24:27], v206 offset0:110 offset1:191
	s_wait_loadcnt_dscnt 0x0
	v_mul_f32_e32 v40, v29, v27
	v_mul_f32_e32 v16, v29, v26
	s_delay_alu instid0(VALU_DEP_2) | instskip(NEXT) | instid1(VALU_DEP_2)
	v_fmac_f32_e32 v40, v28, v26
	v_fma_f32 v41, v28, v27, -v16
	s_clause 0x1
	scratch_load_b64 v[26:27], off, off offset:112 th:TH_LOAD_LU
	scratch_load_b64 v[28:29], off, off offset:120 th:TH_LOAD_LU
	s_wait_loadcnt 0x1
	v_mul_f32_e32 v57, v27, v25
	v_mul_f32_e32 v16, v27, v24
	s_delay_alu instid0(VALU_DEP_2) | instskip(NEXT) | instid1(VALU_DEP_2)
	v_fmac_f32_e32 v57, v26, v24
	v_fma_f32 v58, v26, v25, -v16
	ds_load_2addr_b64 v[24:27], v232 offset0:16 offset1:97
	s_wait_loadcnt_dscnt 0x0
	v_mul_f32_e32 v50, v29, v25
	v_mul_f32_e32 v16, v29, v24
	s_delay_alu instid0(VALU_DEP_2) | instskip(NEXT) | instid1(VALU_DEP_2)
	v_fmac_f32_e32 v50, v28, v24
	;; [unrolled: 16-line block ×6, first 2 shown]
	v_fma_f32 v68, v28, v25, -v16
	s_clause 0x1
	scratch_load_b64 v[24:25], off, off offset:48 th:TH_LOAD_LU
	scratch_load_b32 v28, off, off offset:248 th:TH_LOAD_LU
	s_wait_loadcnt 0x1
	v_mul_f32_e32 v69, v25, v27
	v_mul_f32_e32 v16, v25, v26
	s_delay_alu instid0(VALU_DEP_2) | instskip(NEXT) | instid1(VALU_DEP_2)
	v_fmac_f32_e32 v69, v24, v26
	v_fma_f32 v70, v24, v27, -v16
	scratch_load_b64 v[26:27], off, off th:TH_LOAD_LU ; 8-byte Folded Reload
	s_wait_loadcnt 0x0
	v_mad_co_u64_u32 v[24:25], null, s6, v26, 0
	s_delay_alu instid0(VALU_DEP_1) | instskip(NEXT) | instid1(VALU_DEP_1)
	v_mov_b32_e32 v16, v25
	v_mad_co_u64_u32 v[25:26], null, s7, v26, v[16:17]
	v_mad_co_u64_u32 v[26:27], null, s4, v28, 0
	s_delay_alu instid0(VALU_DEP_2) | instskip(NEXT) | instid1(VALU_DEP_2)
	v_lshlrev_b64_e32 v[24:25], 3, v[24:25]
	v_mov_b32_e32 v16, v27
	s_delay_alu instid0(VALU_DEP_1) | instskip(SKIP_2) | instid1(VALU_DEP_3)
	v_mad_co_u64_u32 v[27:28], null, s5, v28, v[16:17]
	v_cvt_f64_f32_e32 v[28:29], v0
	v_cvt_f64_f32_e32 v[0:1], v1
	v_lshlrev_b64_e32 v[26:27], 3, v[26:27]
	s_delay_alu instid0(VALU_DEP_3) | instskip(NEXT) | instid1(VALU_DEP_3)
	v_mul_f64_e32 v[28:29], s[2:3], v[28:29]
	v_mul_f64_e32 v[0:1], s[2:3], v[0:1]
	s_delay_alu instid0(VALU_DEP_2) | instskip(NEXT) | instid1(VALU_DEP_2)
	v_cvt_f32_f64_e32 v28, v[28:29]
	v_cvt_f32_f64_e32 v29, v[0:1]
	v_cvt_f64_f32_e32 v[0:1], v15
	v_cvt_f64_f32_e32 v[15:16], v17
	v_add_co_u32 v17, vcc_lo, s0, v24
	s_wait_alu 0xfffd
	v_add_co_ci_u32_e32 v25, vcc_lo, s1, v25, vcc_lo
	s_mul_u64 s[0:1], s[4:5], 0x798
	s_delay_alu instid0(VALU_DEP_2) | instskip(SKIP_1) | instid1(VALU_DEP_2)
	v_add_co_u32 v24, vcc_lo, v17, v26
	s_wait_alu 0xfffd
	v_add_co_ci_u32_e32 v25, vcc_lo, v25, v27, vcc_lo
	v_cvt_f64_f32_e32 v[26:27], v34
	v_cvt_f64_f32_e32 v[34:35], v11
	s_mulk_i32 s5, 0xbe30
	v_cvt_f64_f32_e32 v[10:11], v10
	s_wait_alu 0xfffe
	s_sub_co_i32 s5, s5, s4
	global_store_b64 v[24:25], v[28:29], off
	v_mul_f64_e32 v[0:1], s[2:3], v[0:1]
	v_mul_f64_e32 v[15:16], s[2:3], v[15:16]
	v_cvt_f64_f32_e32 v[28:29], v38
	v_cvt_f64_f32_e32 v[38:39], v39
	v_add_co_u32 v24, vcc_lo, v24, s0
	s_wait_alu 0xfffd
	v_add_co_ci_u32_e32 v25, vcc_lo, s1, v25, vcc_lo
	global_store_b64 v[24:25], v[30:31], off
	v_cvt_f64_f32_e32 v[30:31], v42
	v_mul_f64_e32 v[26:27], s[2:3], v[26:27]
	v_mul_f64_e32 v[34:35], s[2:3], v[34:35]
	v_add_co_u32 v24, vcc_lo, v24, s0
	s_wait_alu 0xfffd
	v_add_co_ci_u32_e32 v25, vcc_lo, s1, v25, vcc_lo
	v_mul_f64_e32 v[10:11], s[2:3], v[10:11]
	v_cvt_f32_f64_e32 v0, v[0:1]
	v_cvt_f32_f64_e32 v1, v[15:16]
	v_cvt_f64_f32_e32 v[14:15], v40
	v_cvt_f64_f32_e32 v[16:17], v41
	;; [unrolled: 1-line block ×3, first 2 shown]
	v_mul_f64_e32 v[28:29], s[2:3], v[28:29]
	v_mul_f64_e32 v[38:39], s[2:3], v[38:39]
	v_cvt_f64_f32_e32 v[42:43], v2
	v_cvt_f64_f32_e32 v[2:3], v3
	v_mul_f64_e32 v[30:31], s[2:3], v[30:31]
	v_cvt_f32_f64_e32 v26, v[26:27]
	v_cvt_f32_f64_e32 v27, v[32:33]
	v_cvt_f64_f32_e32 v[32:33], v21
	v_cvt_f64_f32_e32 v[21:22], v22
	v_cvt_f32_f64_e32 v10, v[10:11]
	global_store_b64 v[24:25], v[0:1], off
	v_mul_f64_e32 v[14:15], s[2:3], v[14:15]
	v_mul_f64_e32 v[16:17], s[2:3], v[16:17]
	;; [unrolled: 1-line block ×3, first 2 shown]
	v_add_co_u32 v0, vcc_lo, v24, s0
	s_wait_alu 0xfffd
	v_add_co_ci_u32_e32 v1, vcc_lo, s1, v25, vcc_lo
	v_cvt_f32_f64_e32 v24, v[34:35]
	v_cvt_f32_f64_e32 v25, v[36:37]
	v_cvt_f64_f32_e32 v[34:35], v44
	v_cvt_f64_f32_e32 v[36:37], v45
	;; [unrolled: 1-line block ×4, first 2 shown]
	v_cvt_f32_f64_e32 v30, v[30:31]
	v_mul_f64_e32 v[32:33], s[2:3], v[32:33]
	v_mul_f64_e32 v[21:22], s[2:3], v[21:22]
	;; [unrolled: 1-line block ×3, first 2 shown]
	global_store_b64 v[0:1], v[26:27], off
	v_mul_f64_e32 v[2:3], s[2:3], v[2:3]
	v_add_co_u32 v0, vcc_lo, v0, s0
	s_wait_alu 0xfffd
	v_add_co_ci_u32_e32 v1, vcc_lo, s1, v1, vcc_lo
	v_cvt_f32_f64_e32 v14, v[14:15]
	v_cvt_f32_f64_e32 v15, v[16:17]
	;; [unrolled: 1-line block ×4, first 2 shown]
	v_cvt_f64_f32_e32 v[28:29], v46
	v_cvt_f64_f32_e32 v[38:39], v47
	v_cvt_f32_f64_e32 v31, v[40:41]
	v_cvt_f64_f32_e32 v[40:41], v48
	v_cvt_f64_f32_e32 v[46:47], v49
	v_mul_f64_e32 v[34:35], s[2:3], v[34:35]
	v_mul_f64_e32 v[36:37], s[2:3], v[36:37]
	;; [unrolled: 1-line block ×4, first 2 shown]
	global_store_b64 v[0:1], v[24:25], off
	v_add_co_u32 v0, vcc_lo, v0, s0
	s_wait_alu 0xfffd
	v_add_co_ci_u32_e32 v1, vcc_lo, s1, v1, vcc_lo
	v_cvt_f32_f64_e32 v2, v[2:3]
	s_delay_alu instid0(VALU_DEP_3) | instskip(SKIP_1) | instid1(VALU_DEP_3)
	v_add_co_u32 v48, vcc_lo, v0, s0
	s_wait_alu 0xfffd
	v_add_co_ci_u32_e32 v49, vcc_lo, s1, v1, vcc_lo
	global_store_b64 v[0:1], v[14:15], off
	v_cvt_f32_f64_e32 v14, v[32:33]
	v_cvt_f32_f64_e32 v15, v[21:22]
	v_mul_f64_e32 v[26:27], s[2:3], v[28:29]
	v_mul_f64_e32 v[28:29], s[2:3], v[38:39]
	v_cvt_f32_f64_e32 v32, v[42:43]
	v_mul_f64_e32 v[24:25], s[2:3], v[40:41]
	v_mul_f64_e32 v[38:39], s[2:3], v[46:47]
	v_cvt_f64_f32_e32 v[40:41], v6
	v_cvt_f64_f32_e32 v[46:47], v9
	v_cvt_f32_f64_e32 v21, v[34:35]
	v_cvt_f32_f64_e32 v22, v[36:37]
	v_cvt_f64_f32_e32 v[34:35], v50
	v_cvt_f64_f32_e32 v[36:37], v51
	;; [unrolled: 1-line block ×4, first 2 shown]
	v_cvt_f32_f64_e32 v33, v[44:45]
	v_cvt_f64_f32_e32 v[42:43], v52
	v_cvt_f64_f32_e32 v[44:45], v53
	v_cvt_f32_f64_e32 v3, v[4:5]
	v_cvt_f64_f32_e32 v[4:5], v13
	v_add_co_u32 v0, vcc_lo, v48, s0
	s_wait_alu 0xfffd
	v_add_co_ci_u32_e32 v1, vcc_lo, s1, v49, vcc_lo
	global_store_b64 v[48:49], v[16:17], off
	v_add_co_u32 v50, vcc_lo, v0, s0
	s_wait_alu 0xfffd
	v_add_co_ci_u32_e32 v51, vcc_lo, s1, v1, vcc_lo
	global_store_b64 v[0:1], v[30:31], off
	v_add_co_u32 v52, vcc_lo, v50, s0
	s_wait_alu 0xfffd
	v_add_co_ci_u32_e32 v53, vcc_lo, s1, v51, vcc_lo
	v_cvt_f64_f32_e32 v[17:18], v18
	global_store_b64 v[50:51], v[14:15], off
	v_cvt_f32_f64_e32 v26, v[26:27]
	v_cvt_f32_f64_e32 v27, v[28:29]
	v_cvt_f64_f32_e32 v[28:29], v23
	v_cvt_f32_f64_e32 v23, v[24:25]
	v_cvt_f32_f64_e32 v24, v[38:39]
	v_mul_f64_e32 v[38:39], s[2:3], v[40:41]
	v_mul_f64_e32 v[40:41], s[2:3], v[46:47]
	v_mad_co_u64_u32 v[46:47], null, 0xffffbe30, s4, v[52:53]
	v_mul_f64_e32 v[13:14], s[2:3], v[34:35]
	v_mul_f64_e32 v[15:16], s[2:3], v[36:37]
	;; [unrolled: 1-line block ×4, first 2 shown]
	global_store_b64 v[52:53], v[21:22], off
	v_mul_f64_e32 v[30:31], s[2:3], v[42:43]
	s_wait_alu 0xfffe
	v_add_nc_u32_e32 v47, s5, v47
	v_add_co_u32 v0, vcc_lo, v46, s0
	v_mul_f64_e32 v[34:35], s[2:3], v[44:45]
	v_mul_f64_e32 v[4:5], s[2:3], v[4:5]
	s_wait_alu 0xfffd
	v_add_co_ci_u32_e32 v1, vcc_lo, s1, v47, vcc_lo
	v_add_co_u32 v36, vcc_lo, v0, s0
	v_cvt_f64_f32_e32 v[42:43], v57
	s_wait_alu 0xfffd
	s_delay_alu instid0(VALU_DEP_3) | instskip(NEXT) | instid1(VALU_DEP_3)
	v_add_co_ci_u32_e32 v37, vcc_lo, s1, v1, vcc_lo
	v_add_co_u32 v21, vcc_lo, v36, s0
	v_cvt_f64_f32_e32 v[44:45], v58
	s_wait_alu 0xfffd
	s_delay_alu instid0(VALU_DEP_3)
	v_add_co_ci_u32_e32 v22, vcc_lo, s1, v37, vcc_lo
	global_store_b64 v[46:47], v[32:33], off
	global_store_b64 v[0:1], v[26:27], off
	;; [unrolled: 1-line block ×4, first 2 shown]
	v_mul_f64_e32 v[28:29], s[2:3], v[28:29]
	v_cvt_f64_f32_e32 v[2:3], v67
	v_cvt_f64_f32_e32 v[23:24], v68
	;; [unrolled: 1-line block ×6, first 2 shown]
	v_cvt_f32_f64_e32 v12, v[13:14]
	v_cvt_f32_f64_e32 v13, v[15:16]
	;; [unrolled: 1-line block ×4, first 2 shown]
	v_cvt_f64_f32_e32 v[8:9], v59
	v_cvt_f64_f32_e32 v[14:15], v60
	v_cvt_f32_f64_e32 v0, v[38:39]
	v_cvt_f32_f64_e32 v1, v[40:41]
	v_cvt_f64_f32_e32 v[38:39], v55
	v_cvt_f64_f32_e32 v[40:41], v56
	v_cvt_f32_f64_e32 v30, v[30:31]
	v_cvt_f32_f64_e32 v31, v[34:35]
	v_cvt_f64_f32_e32 v[34:35], v61
	v_cvt_f64_f32_e32 v[46:47], v62
	v_cvt_f32_f64_e32 v4, v[4:5]
	v_cvt_f64_f32_e32 v[50:51], v64
	v_cvt_f64_f32_e32 v[52:53], v65
	;; [unrolled: 1-line block ×5, first 2 shown]
	v_add_co_u32 v21, vcc_lo, v21, s0
	s_wait_alu 0xfffd
	v_add_co_ci_u32_e32 v22, vcc_lo, s1, v22, vcc_lo
	v_mul_f64_e32 v[16:17], s[2:3], v[17:18]
	s_delay_alu instid0(VALU_DEP_3) | instskip(SKIP_1) | instid1(VALU_DEP_3)
	v_add_co_u32 v48, vcc_lo, v21, s0
	s_wait_alu 0xfffd
	v_add_co_ci_u32_e32 v49, vcc_lo, s1, v22, vcc_lo
	v_mul_f64_e32 v[42:43], s[2:3], v[42:43]
	s_delay_alu instid0(VALU_DEP_3)
	v_add_co_u32 v60, vcc_lo, v48, s0
	v_cvt_f32_f64_e32 v5, v[28:29]
	v_cvt_f64_f32_e32 v[27:28], v63
	v_mul_f64_e32 v[2:3], s[2:3], v[2:3]
	v_mul_f64_e32 v[23:24], s[2:3], v[23:24]
	;; [unrolled: 1-line block ×6, first 2 shown]
	s_wait_alu 0xfffd
	v_add_co_ci_u32_e32 v61, vcc_lo, s1, v49, vcc_lo
	v_mul_f64_e32 v[8:9], s[2:3], v[8:9]
	v_mul_f64_e32 v[14:15], s[2:3], v[14:15]
	v_add_co_u32 v62, vcc_lo, v60, s0
	v_mul_f64_e32 v[38:39], s[2:3], v[38:39]
	v_mul_f64_e32 v[40:41], s[2:3], v[40:41]
	;; [unrolled: 1-line block ×3, first 2 shown]
	s_wait_alu 0xfffd
	v_add_co_ci_u32_e32 v63, vcc_lo, s1, v61, vcc_lo
	global_store_b64 v[21:22], v[0:1], off
	global_store_b64 v[48:49], v[12:13], off
	;; [unrolled: 1-line block ×4, first 2 shown]
	v_mul_f64_e32 v[0:1], s[2:3], v[34:35]
	v_mul_f64_e32 v[6:7], s[2:3], v[46:47]
	;; [unrolled: 1-line block ×6, first 2 shown]
	v_add_co_u32 v12, vcc_lo, v62, s0
	s_wait_alu 0xfffd
	v_add_co_ci_u32_e32 v13, vcc_lo, s1, v63, vcc_lo
	global_store_b64 v[12:13], v[4:5], off
	v_mul_f64_e32 v[20:21], s[2:3], v[27:28]
	v_mul_f64_e32 v[27:28], s[2:3], v[50:51]
	v_cvt_f32_f64_e32 v2, v[2:3]
	v_cvt_f32_f64_e32 v3, v[23:24]
	v_add_co_u32 v4, vcc_lo, v12, s0
	s_wait_alu 0xfffd
	v_add_co_ci_u32_e32 v5, vcc_lo, s1, v13, vcc_lo
	v_cvt_f32_f64_e32 v11, v[25:26]
	v_cvt_f32_f64_e32 v12, v[32:33]
	;; [unrolled: 1-line block ×3, first 2 shown]
	s_delay_alu instid0(VALU_DEP_4)
	v_mad_co_u64_u32 v[22:23], null, 0xffffbe30, s4, v[4:5]
	v_cvt_f32_f64_e32 v16, v[18:19]
	v_cvt_f32_f64_e32 v17, v[36:37]
	;; [unrolled: 1-line block ×6, first 2 shown]
	v_add_nc_u32_e32 v23, s5, v23
	v_add_co_u32 v14, vcc_lo, v22, s0
	v_cvt_f32_f64_e32 v24, v[42:43]
	v_cvt_f32_f64_e32 v25, v[44:45]
	s_wait_alu 0xfffd
	v_add_co_ci_u32_e32 v15, vcc_lo, s1, v23, vcc_lo
	v_cvt_f32_f64_e32 v0, v[0:1]
	v_cvt_f32_f64_e32 v1, v[6:7]
	v_add_co_u32 v6, vcc_lo, v14, s0
	s_wait_alu 0xfffd
	v_add_co_ci_u32_e32 v7, vcc_lo, s1, v15, vcc_lo
	v_cvt_f32_f64_e32 v26, v[29:30]
	v_cvt_f32_f64_e32 v29, v[48:49]
	v_add_co_u32 v30, vcc_lo, v6, s0
	s_wait_alu 0xfffd
	v_add_co_ci_u32_e32 v31, vcc_lo, s1, v7, vcc_lo
	v_cvt_f32_f64_e32 v20, v[20:21]
	v_cvt_f32_f64_e32 v21, v[27:28]
	;; [unrolled: 1-line block ×4, first 2 shown]
	global_store_b64 v[4:5], v[2:3], off
	v_add_co_u32 v2, vcc_lo, v30, s0
	s_wait_alu 0xfffd
	v_add_co_ci_u32_e32 v3, vcc_lo, s1, v31, vcc_lo
	global_store_b64 v[22:23], v[10:11], off
	v_add_co_u32 v4, vcc_lo, v2, s0
	s_wait_alu 0xfffd
	v_add_co_ci_u32_e32 v5, vcc_lo, s1, v3, vcc_lo
	;; [unrolled: 4-line block ×6, first 2 shown]
	global_store_b64 v[4:5], v[8:9], off
	global_store_b64 v[10:11], v[0:1], off
	global_store_b64 v[6:7], v[20:21], off
	global_store_b64 v[12:13], v[26:27], off
	global_store_b64 v[2:3], v[28:29], off
.LBB0_2:
	s_nop 0
	s_sendmsg sendmsg(MSG_DEALLOC_VGPRS)
	s_endpgm
	.section	.rodata,"a",@progbits
	.p2align	6, 0x0
	.amdhsa_kernel bluestein_single_fwd_len2430_dim1_sp_op_CI_CI
		.amdhsa_group_segment_fixed_size 19440
		.amdhsa_private_segment_fixed_size 540
		.amdhsa_kernarg_size 104
		.amdhsa_user_sgpr_count 2
		.amdhsa_user_sgpr_dispatch_ptr 0
		.amdhsa_user_sgpr_queue_ptr 0
		.amdhsa_user_sgpr_kernarg_segment_ptr 1
		.amdhsa_user_sgpr_dispatch_id 0
		.amdhsa_user_sgpr_private_segment_size 0
		.amdhsa_wavefront_size32 1
		.amdhsa_uses_dynamic_stack 0
		.amdhsa_enable_private_segment 1
		.amdhsa_system_sgpr_workgroup_id_x 1
		.amdhsa_system_sgpr_workgroup_id_y 0
		.amdhsa_system_sgpr_workgroup_id_z 0
		.amdhsa_system_sgpr_workgroup_info 0
		.amdhsa_system_vgpr_workitem_id 0
		.amdhsa_next_free_vgpr 256
		.amdhsa_next_free_sgpr 20
		.amdhsa_reserve_vcc 1
		.amdhsa_float_round_mode_32 0
		.amdhsa_float_round_mode_16_64 0
		.amdhsa_float_denorm_mode_32 3
		.amdhsa_float_denorm_mode_16_64 3
		.amdhsa_fp16_overflow 0
		.amdhsa_workgroup_processor_mode 1
		.amdhsa_memory_ordered 1
		.amdhsa_forward_progress 0
		.amdhsa_round_robin_scheduling 0
		.amdhsa_exception_fp_ieee_invalid_op 0
		.amdhsa_exception_fp_denorm_src 0
		.amdhsa_exception_fp_ieee_div_zero 0
		.amdhsa_exception_fp_ieee_overflow 0
		.amdhsa_exception_fp_ieee_underflow 0
		.amdhsa_exception_fp_ieee_inexact 0
		.amdhsa_exception_int_div_zero 0
	.end_amdhsa_kernel
	.text
.Lfunc_end0:
	.size	bluestein_single_fwd_len2430_dim1_sp_op_CI_CI, .Lfunc_end0-bluestein_single_fwd_len2430_dim1_sp_op_CI_CI
                                        ; -- End function
	.section	.AMDGPU.csdata,"",@progbits
; Kernel info:
; codeLenInByte = 36984
; NumSgprs: 22
; NumVgprs: 256
; ScratchSize: 540
; MemoryBound: 0
; FloatMode: 240
; IeeeMode: 1
; LDSByteSize: 19440 bytes/workgroup (compile time only)
; SGPRBlocks: 2
; VGPRBlocks: 31
; NumSGPRsForWavesPerEU: 22
; NumVGPRsForWavesPerEU: 256
; Occupancy: 5
; WaveLimiterHint : 1
; COMPUTE_PGM_RSRC2:SCRATCH_EN: 1
; COMPUTE_PGM_RSRC2:USER_SGPR: 2
; COMPUTE_PGM_RSRC2:TRAP_HANDLER: 0
; COMPUTE_PGM_RSRC2:TGID_X_EN: 1
; COMPUTE_PGM_RSRC2:TGID_Y_EN: 0
; COMPUTE_PGM_RSRC2:TGID_Z_EN: 0
; COMPUTE_PGM_RSRC2:TIDIG_COMP_CNT: 0
	.text
	.p2alignl 7, 3214868480
	.fill 96, 4, 3214868480
	.type	__hip_cuid_27978cce4ad830ed,@object ; @__hip_cuid_27978cce4ad830ed
	.section	.bss,"aw",@nobits
	.globl	__hip_cuid_27978cce4ad830ed
__hip_cuid_27978cce4ad830ed:
	.byte	0                               ; 0x0
	.size	__hip_cuid_27978cce4ad830ed, 1

	.ident	"AMD clang version 19.0.0git (https://github.com/RadeonOpenCompute/llvm-project roc-6.4.0 25133 c7fe45cf4b819c5991fe208aaa96edf142730f1d)"
	.section	".note.GNU-stack","",@progbits
	.addrsig
	.addrsig_sym __hip_cuid_27978cce4ad830ed
	.amdgpu_metadata
---
amdhsa.kernels:
  - .args:
      - .actual_access:  read_only
        .address_space:  global
        .offset:         0
        .size:           8
        .value_kind:     global_buffer
      - .actual_access:  read_only
        .address_space:  global
        .offset:         8
        .size:           8
        .value_kind:     global_buffer
      - .actual_access:  read_only
        .address_space:  global
        .offset:         16
        .size:           8
        .value_kind:     global_buffer
      - .actual_access:  read_only
        .address_space:  global
        .offset:         24
        .size:           8
        .value_kind:     global_buffer
      - .actual_access:  read_only
        .address_space:  global
        .offset:         32
        .size:           8
        .value_kind:     global_buffer
      - .offset:         40
        .size:           8
        .value_kind:     by_value
      - .address_space:  global
        .offset:         48
        .size:           8
        .value_kind:     global_buffer
      - .address_space:  global
        .offset:         56
        .size:           8
        .value_kind:     global_buffer
      - .address_space:  global
        .offset:         64
        .size:           8
        .value_kind:     global_buffer
      - .address_space:  global
        .offset:         72
        .size:           8
        .value_kind:     global_buffer
      - .offset:         80
        .size:           4
        .value_kind:     by_value
      - .address_space:  global
        .offset:         88
        .size:           8
        .value_kind:     global_buffer
      - .address_space:  global
        .offset:         96
        .size:           8
        .value_kind:     global_buffer
    .group_segment_fixed_size: 19440
    .kernarg_segment_align: 8
    .kernarg_segment_size: 104
    .language:       OpenCL C
    .language_version:
      - 2
      - 0
    .max_flat_workgroup_size: 81
    .name:           bluestein_single_fwd_len2430_dim1_sp_op_CI_CI
    .private_segment_fixed_size: 540
    .sgpr_count:     22
    .sgpr_spill_count: 0
    .symbol:         bluestein_single_fwd_len2430_dim1_sp_op_CI_CI.kd
    .uniform_work_group_size: 1
    .uses_dynamic_stack: false
    .vgpr_count:     256
    .vgpr_spill_count: 134
    .wavefront_size: 32
    .workgroup_processor_mode: 1
amdhsa.target:   amdgcn-amd-amdhsa--gfx1201
amdhsa.version:
  - 1
  - 2
...

	.end_amdgpu_metadata
